;; amdgpu-corpus repo=ROCm/rocFFT kind=compiled arch=gfx906 opt=O3
	.text
	.amdgcn_target "amdgcn-amd-amdhsa--gfx906"
	.amdhsa_code_object_version 6
	.protected	fft_rtc_back_len1071_factors_17_7_9_wgs_119_tpt_119_halfLds_half_op_CI_CI_sbrr_dirReg ; -- Begin function fft_rtc_back_len1071_factors_17_7_9_wgs_119_tpt_119_halfLds_half_op_CI_CI_sbrr_dirReg
	.globl	fft_rtc_back_len1071_factors_17_7_9_wgs_119_tpt_119_halfLds_half_op_CI_CI_sbrr_dirReg
	.p2align	8
	.type	fft_rtc_back_len1071_factors_17_7_9_wgs_119_tpt_119_halfLds_half_op_CI_CI_sbrr_dirReg,@function
fft_rtc_back_len1071_factors_17_7_9_wgs_119_tpt_119_halfLds_half_op_CI_CI_sbrr_dirReg: ; @fft_rtc_back_len1071_factors_17_7_9_wgs_119_tpt_119_halfLds_half_op_CI_CI_sbrr_dirReg
; %bb.0:
	s_load_dwordx4 s[16:19], s[4:5], 0x18
	s_load_dwordx4 s[12:15], s[4:5], 0x0
	;; [unrolled: 1-line block ×3, first 2 shown]
	v_mul_u32_u24_e32 v1, 0x227, v0
	v_add_u32_sdwa v5, s6, v1 dst_sel:DWORD dst_unused:UNUSED_PAD src0_sel:DWORD src1_sel:WORD_1
	s_waitcnt lgkmcnt(0)
	s_load_dwordx2 s[2:3], s[16:17], 0x0
	s_load_dwordx2 s[20:21], s[18:19], 0x0
	v_cmp_lt_u64_e64 s[0:1], s[14:15], 2
	v_mov_b32_e32 v3, 0
	v_mov_b32_e32 v1, 0
	;; [unrolled: 1-line block ×3, first 2 shown]
	s_and_b64 vcc, exec, s[0:1]
	v_mov_b32_e32 v2, 0
	s_cbranch_vccnz .LBB0_8
; %bb.1:
	s_load_dwordx2 s[0:1], s[4:5], 0x10
	s_add_u32 s6, s18, 8
	s_addc_u32 s7, s19, 0
	s_add_u32 s22, s16, 8
	v_mov_b32_e32 v1, 0
	s_addc_u32 s23, s17, 0
	v_mov_b32_e32 v2, 0
	s_waitcnt lgkmcnt(0)
	s_add_u32 s24, s0, 8
	v_mov_b32_e32 v9, v2
	s_addc_u32 s25, s1, 0
	s_mov_b64 s[26:27], 1
	v_mov_b32_e32 v8, v1
.LBB0_2:                                ; =>This Inner Loop Header: Depth=1
	s_load_dwordx2 s[28:29], s[24:25], 0x0
                                        ; implicit-def: $vgpr10_vgpr11
	s_waitcnt lgkmcnt(0)
	v_or_b32_e32 v4, s29, v6
	v_cmp_ne_u64_e32 vcc, 0, v[3:4]
	s_and_saveexec_b64 s[0:1], vcc
	s_xor_b64 s[30:31], exec, s[0:1]
	s_cbranch_execz .LBB0_4
; %bb.3:                                ;   in Loop: Header=BB0_2 Depth=1
	v_cvt_f32_u32_e32 v4, s28
	v_cvt_f32_u32_e32 v7, s29
	s_sub_u32 s0, 0, s28
	s_subb_u32 s1, 0, s29
	v_mac_f32_e32 v4, 0x4f800000, v7
	v_rcp_f32_e32 v4, v4
	v_mul_f32_e32 v4, 0x5f7ffffc, v4
	v_mul_f32_e32 v7, 0x2f800000, v4
	v_trunc_f32_e32 v7, v7
	v_mac_f32_e32 v4, 0xcf800000, v7
	v_cvt_u32_f32_e32 v7, v7
	v_cvt_u32_f32_e32 v4, v4
	v_mul_lo_u32 v10, s0, v7
	v_mul_hi_u32 v11, s0, v4
	v_mul_lo_u32 v13, s1, v4
	v_mul_lo_u32 v12, s0, v4
	v_add_u32_e32 v10, v11, v10
	v_add_u32_e32 v10, v10, v13
	v_mul_hi_u32 v11, v4, v12
	v_mul_lo_u32 v13, v4, v10
	v_mul_hi_u32 v15, v4, v10
	v_mul_hi_u32 v14, v7, v12
	v_mul_lo_u32 v12, v7, v12
	v_mul_hi_u32 v16, v7, v10
	v_add_co_u32_e32 v11, vcc, v11, v13
	v_addc_co_u32_e32 v13, vcc, 0, v15, vcc
	v_mul_lo_u32 v10, v7, v10
	v_add_co_u32_e32 v11, vcc, v11, v12
	v_addc_co_u32_e32 v11, vcc, v13, v14, vcc
	v_addc_co_u32_e32 v12, vcc, 0, v16, vcc
	v_add_co_u32_e32 v10, vcc, v11, v10
	v_addc_co_u32_e32 v11, vcc, 0, v12, vcc
	v_add_co_u32_e32 v4, vcc, v4, v10
	v_addc_co_u32_e32 v7, vcc, v7, v11, vcc
	v_mul_lo_u32 v10, s0, v7
	v_mul_hi_u32 v11, s0, v4
	v_mul_lo_u32 v12, s1, v4
	v_mul_lo_u32 v13, s0, v4
	v_add_u32_e32 v10, v11, v10
	v_add_u32_e32 v10, v10, v12
	v_mul_lo_u32 v14, v4, v10
	v_mul_hi_u32 v15, v4, v13
	v_mul_hi_u32 v16, v4, v10
	;; [unrolled: 1-line block ×3, first 2 shown]
	v_mul_lo_u32 v13, v7, v13
	v_mul_hi_u32 v11, v7, v10
	v_add_co_u32_e32 v14, vcc, v15, v14
	v_addc_co_u32_e32 v15, vcc, 0, v16, vcc
	v_mul_lo_u32 v10, v7, v10
	v_add_co_u32_e32 v13, vcc, v14, v13
	v_addc_co_u32_e32 v12, vcc, v15, v12, vcc
	v_addc_co_u32_e32 v11, vcc, 0, v11, vcc
	v_add_co_u32_e32 v10, vcc, v12, v10
	v_addc_co_u32_e32 v11, vcc, 0, v11, vcc
	v_add_co_u32_e32 v4, vcc, v4, v10
	v_addc_co_u32_e32 v7, vcc, v7, v11, vcc
	v_mad_u64_u32 v[10:11], s[0:1], v5, v7, 0
	v_mul_hi_u32 v12, v5, v4
	v_add_co_u32_e32 v14, vcc, v12, v10
	v_addc_co_u32_e32 v15, vcc, 0, v11, vcc
	v_mad_u64_u32 v[10:11], s[0:1], v6, v4, 0
	v_mad_u64_u32 v[12:13], s[0:1], v6, v7, 0
	v_add_co_u32_e32 v4, vcc, v14, v10
	v_addc_co_u32_e32 v4, vcc, v15, v11, vcc
	v_addc_co_u32_e32 v7, vcc, 0, v13, vcc
	v_add_co_u32_e32 v4, vcc, v4, v12
	v_addc_co_u32_e32 v7, vcc, 0, v7, vcc
	v_mul_lo_u32 v12, s29, v4
	v_mul_lo_u32 v13, s28, v7
	v_mad_u64_u32 v[10:11], s[0:1], s28, v4, 0
	v_add3_u32 v11, v11, v13, v12
	v_sub_u32_e32 v12, v6, v11
	v_mov_b32_e32 v13, s29
	v_sub_co_u32_e32 v10, vcc, v5, v10
	v_subb_co_u32_e64 v12, s[0:1], v12, v13, vcc
	v_subrev_co_u32_e64 v13, s[0:1], s28, v10
	v_subbrev_co_u32_e64 v12, s[0:1], 0, v12, s[0:1]
	v_cmp_le_u32_e64 s[0:1], s29, v12
	v_cndmask_b32_e64 v14, 0, -1, s[0:1]
	v_cmp_le_u32_e64 s[0:1], s28, v13
	v_cndmask_b32_e64 v13, 0, -1, s[0:1]
	v_cmp_eq_u32_e64 s[0:1], s29, v12
	v_cndmask_b32_e64 v12, v14, v13, s[0:1]
	v_add_co_u32_e64 v13, s[0:1], 2, v4
	v_addc_co_u32_e64 v14, s[0:1], 0, v7, s[0:1]
	v_add_co_u32_e64 v15, s[0:1], 1, v4
	v_addc_co_u32_e64 v16, s[0:1], 0, v7, s[0:1]
	v_subb_co_u32_e32 v11, vcc, v6, v11, vcc
	v_cmp_ne_u32_e64 s[0:1], 0, v12
	v_cmp_le_u32_e32 vcc, s29, v11
	v_cndmask_b32_e64 v12, v16, v14, s[0:1]
	v_cndmask_b32_e64 v14, 0, -1, vcc
	v_cmp_le_u32_e32 vcc, s28, v10
	v_cndmask_b32_e64 v10, 0, -1, vcc
	v_cmp_eq_u32_e32 vcc, s29, v11
	v_cndmask_b32_e32 v10, v14, v10, vcc
	v_cmp_ne_u32_e32 vcc, 0, v10
	v_cndmask_b32_e32 v11, v7, v12, vcc
	v_cndmask_b32_e64 v7, v15, v13, s[0:1]
	v_cndmask_b32_e32 v10, v4, v7, vcc
.LBB0_4:                                ;   in Loop: Header=BB0_2 Depth=1
	s_andn2_saveexec_b64 s[0:1], s[30:31]
	s_cbranch_execz .LBB0_6
; %bb.5:                                ;   in Loop: Header=BB0_2 Depth=1
	v_cvt_f32_u32_e32 v4, s28
	s_sub_i32 s30, 0, s28
	v_rcp_iflag_f32_e32 v4, v4
	v_mul_f32_e32 v4, 0x4f7ffffe, v4
	v_cvt_u32_f32_e32 v4, v4
	v_mul_lo_u32 v7, s30, v4
	v_mul_hi_u32 v7, v4, v7
	v_add_u32_e32 v4, v4, v7
	v_mul_hi_u32 v4, v5, v4
	v_mul_lo_u32 v7, v4, s28
	v_add_u32_e32 v10, 1, v4
	v_sub_u32_e32 v7, v5, v7
	v_subrev_u32_e32 v11, s28, v7
	v_cmp_le_u32_e32 vcc, s28, v7
	v_cndmask_b32_e32 v7, v7, v11, vcc
	v_cndmask_b32_e32 v4, v4, v10, vcc
	v_add_u32_e32 v10, 1, v4
	v_cmp_le_u32_e32 vcc, s28, v7
	v_cndmask_b32_e32 v10, v4, v10, vcc
	v_mov_b32_e32 v11, v3
.LBB0_6:                                ;   in Loop: Header=BB0_2 Depth=1
	s_or_b64 exec, exec, s[0:1]
	v_mul_lo_u32 v4, v11, s28
	v_mul_lo_u32 v7, v10, s29
	v_mad_u64_u32 v[12:13], s[0:1], v10, s28, 0
	s_load_dwordx2 s[0:1], s[22:23], 0x0
	s_load_dwordx2 s[28:29], s[6:7], 0x0
	v_add3_u32 v4, v13, v7, v4
	v_sub_co_u32_e32 v5, vcc, v5, v12
	v_subb_co_u32_e32 v4, vcc, v6, v4, vcc
	s_waitcnt lgkmcnt(0)
	v_mul_lo_u32 v6, s0, v4
	v_mul_lo_u32 v7, s1, v5
	v_mad_u64_u32 v[1:2], s[0:1], s0, v5, v[1:2]
	v_mul_lo_u32 v4, s28, v4
	v_mul_lo_u32 v12, s29, v5
	v_mad_u64_u32 v[8:9], s[0:1], s28, v5, v[8:9]
	s_add_u32 s26, s26, 1
	s_addc_u32 s27, s27, 0
	s_add_u32 s6, s6, 8
	v_add3_u32 v9, v12, v9, v4
	s_addc_u32 s7, s7, 0
	v_mov_b32_e32 v4, s14
	s_add_u32 s22, s22, 8
	v_mov_b32_e32 v5, s15
	s_addc_u32 s23, s23, 0
	v_cmp_ge_u64_e32 vcc, s[26:27], v[4:5]
	s_add_u32 s24, s24, 8
	v_add3_u32 v2, v7, v2, v6
	s_addc_u32 s25, s25, 0
	s_cbranch_vccnz .LBB0_9
; %bb.7:                                ;   in Loop: Header=BB0_2 Depth=1
	v_mov_b32_e32 v5, v10
	v_mov_b32_e32 v6, v11
	s_branch .LBB0_2
.LBB0_8:
	v_mov_b32_e32 v9, v2
	v_mov_b32_e32 v11, v6
	;; [unrolled: 1-line block ×4, first 2 shown]
.LBB0_9:
	s_lshl_b64 s[22:23], s[14:15], 3
	s_load_dwordx2 s[0:1], s[4:5], 0x28
	s_add_u32 s4, s18, s22
	s_mov_b32 s5, 0x226b903
	v_mul_hi_u32 v3, v0, s5
	s_addc_u32 s5, s19, s23
	s_load_dwordx2 s[4:5], s[4:5], 0x0
	s_waitcnt lgkmcnt(0)
	v_cmp_gt_u64_e32 vcc, s[0:1], v[10:11]
	v_mul_u32_u24_e32 v3, 0x77, v3
	v_sub_u32_e32 v12, v0, v3
	v_mov_b32_e32 v4, 0
	v_mov_b32_e32 v13, 0
	;; [unrolled: 1-line block ×3, first 2 shown]
                                        ; implicit-def: $vgpr6
                                        ; implicit-def: $vgpr36
                                        ; implicit-def: $vgpr15
                                        ; implicit-def: $vgpr34
                                        ; implicit-def: $vgpr16
                                        ; implicit-def: $vgpr32
                                        ; implicit-def: $vgpr17
                                        ; implicit-def: $vgpr31
                                        ; implicit-def: $vgpr18
                                        ; implicit-def: $vgpr30
                                        ; implicit-def: $vgpr19
                                        ; implicit-def: $vgpr7
                                        ; implicit-def: $vgpr20
                                        ; implicit-def: $vgpr5
                                        ; implicit-def: $vgpr21
                                        ; implicit-def: $vgpr37
                                        ; implicit-def: $vgpr22
                                        ; implicit-def: $vgpr38
                                        ; implicit-def: $vgpr23
                                        ; implicit-def: $vgpr40
                                        ; implicit-def: $vgpr29
                                        ; implicit-def: $vgpr45
                                        ; implicit-def: $vgpr24
                                        ; implicit-def: $vgpr44
                                        ; implicit-def: $vgpr25
                                        ; implicit-def: $vgpr43
                                        ; implicit-def: $vgpr26
                                        ; implicit-def: $vgpr42
                                        ; implicit-def: $vgpr27
                                        ; implicit-def: $vgpr41
                                        ; implicit-def: $vgpr28
                                        ; implicit-def: $vgpr39
	s_and_saveexec_b64 s[6:7], vcc
	s_cbranch_execz .LBB0_13
; %bb.10:
	v_cmp_gt_u32_e64 s[0:1], 63, v12
	v_mov_b32_e32 v0, 0
	v_mov_b32_e32 v4, 0
                                        ; implicit-def: $vgpr39
                                        ; implicit-def: $vgpr28
                                        ; implicit-def: $vgpr41
                                        ; implicit-def: $vgpr27
                                        ; implicit-def: $vgpr42
                                        ; implicit-def: $vgpr26
                                        ; implicit-def: $vgpr43
                                        ; implicit-def: $vgpr25
                                        ; implicit-def: $vgpr44
                                        ; implicit-def: $vgpr24
                                        ; implicit-def: $vgpr45
                                        ; implicit-def: $vgpr29
                                        ; implicit-def: $vgpr40
                                        ; implicit-def: $vgpr23
                                        ; implicit-def: $vgpr38
                                        ; implicit-def: $vgpr22
                                        ; implicit-def: $vgpr37
                                        ; implicit-def: $vgpr21
                                        ; implicit-def: $vgpr5
                                        ; implicit-def: $vgpr20
                                        ; implicit-def: $vgpr7
                                        ; implicit-def: $vgpr19
                                        ; implicit-def: $vgpr30
                                        ; implicit-def: $vgpr18
                                        ; implicit-def: $vgpr31
                                        ; implicit-def: $vgpr17
                                        ; implicit-def: $vgpr32
                                        ; implicit-def: $vgpr16
                                        ; implicit-def: $vgpr34
                                        ; implicit-def: $vgpr15
                                        ; implicit-def: $vgpr36
                                        ; implicit-def: $vgpr6
	s_and_saveexec_b64 s[14:15], s[0:1]
	s_cbranch_execz .LBB0_12
; %bb.11:
	s_add_u32 s0, s16, s22
	s_addc_u32 s1, s17, s23
	s_load_dwordx2 s[0:1], s[0:1], 0x0
	v_mad_u64_u32 v[3:4], s[16:17], s2, v12, 0
	v_mov_b32_e32 v0, v4
	s_waitcnt lgkmcnt(0)
	v_mul_lo_u32 v7, s1, v10
	v_mul_lo_u32 v15, s0, v11
	v_mad_u64_u32 v[5:6], s[0:1], s0, v10, 0
	v_mad_u64_u32 v[13:14], s[0:1], s3, v12, v[0:1]
	v_add3_u32 v6, v6, v15, v7
	v_lshlrev_b64 v[5:6], 2, v[5:6]
	v_mov_b32_e32 v0, s9
	v_add_co_u32_e64 v7, s[0:1], s8, v5
	v_add_u32_e32 v14, 63, v12
	v_mov_b32_e32 v4, v13
	v_addc_co_u32_e64 v13, s[0:1], v0, v6, s[0:1]
	v_mad_u64_u32 v[5:6], s[0:1], s2, v14, 0
	v_lshlrev_b64 v[0:1], 2, v[1:2]
	v_add_co_u32_e64 v29, s[0:1], v7, v0
	v_mov_b32_e32 v2, v6
	v_addc_co_u32_e64 v33, s[0:1], v13, v1, s[0:1]
	v_lshlrev_b64 v[0:1], 2, v[3:4]
	v_mad_u64_u32 v[2:3], s[0:1], s3, v14, v[2:3]
	v_add_u32_e32 v7, 0x7e, v12
	v_mad_u64_u32 v[3:4], s[0:1], s2, v7, 0
	v_add_co_u32_e64 v13, s[0:1], v29, v0
	v_mov_b32_e32 v6, v2
	v_mov_b32_e32 v2, v4
	v_addc_co_u32_e64 v14, s[0:1], v33, v1, s[0:1]
	v_lshlrev_b64 v[0:1], 2, v[5:6]
	v_mad_u64_u32 v[4:5], s[0:1], s3, v7, v[2:3]
	v_add_u32_e32 v7, 0xbd, v12
	v_mad_u64_u32 v[5:6], s[0:1], s2, v7, 0
	v_add_co_u32_e64 v15, s[0:1], v29, v0
	v_mov_b32_e32 v2, v6
	v_addc_co_u32_e64 v16, s[0:1], v33, v1, s[0:1]
	v_lshlrev_b64 v[0:1], 2, v[3:4]
	v_mad_u64_u32 v[2:3], s[0:1], s3, v7, v[2:3]
	v_add_u32_e32 v7, 0xfc, v12
	v_mad_u64_u32 v[3:4], s[0:1], s2, v7, 0
	v_add_co_u32_e64 v17, s[0:1], v29, v0
	v_mov_b32_e32 v6, v2
	v_mov_b32_e32 v2, v4
	v_addc_co_u32_e64 v18, s[0:1], v33, v1, s[0:1]
	v_lshlrev_b64 v[0:1], 2, v[5:6]
	v_mad_u64_u32 v[4:5], s[0:1], s3, v7, v[2:3]
	v_add_u32_e32 v7, 0x13b, v12
	v_mad_u64_u32 v[5:6], s[0:1], s2, v7, 0
	;; [unrolled: 15-line block ×3, first 2 shown]
	v_add_co_u32_e64 v23, s[0:1], v29, v0
	v_mov_b32_e32 v2, v6
	v_addc_co_u32_e64 v24, s[0:1], v33, v1, s[0:1]
	v_lshlrev_b64 v[0:1], 2, v[3:4]
	v_mad_u64_u32 v[2:3], s[0:1], s3, v7, v[2:3]
	v_add_co_u32_e64 v3, s[0:1], v29, v0
	v_mov_b32_e32 v6, v2
	v_add_u32_e32 v2, 0x1f8, v12
	v_addc_co_u32_e64 v4, s[0:1], v33, v1, s[0:1]
	v_mad_u64_u32 v[25:26], s[0:1], s2, v2, 0
	v_lshlrev_b64 v[0:1], 2, v[5:6]
	v_add_u32_e32 v6, 0x237, v12
	v_add_co_u32_e64 v27, s[0:1], v29, v0
	v_mov_b32_e32 v0, v26
	v_addc_co_u32_e64 v28, s[0:1], v33, v1, s[0:1]
	v_mad_u64_u32 v[1:2], s[0:1], s3, v2, v[0:1]
	global_load_dword v0, v[13:14], off
	global_load_dword v36, v[15:16], off
	;; [unrolled: 1-line block ×8, first 2 shown]
	v_mad_u64_u32 v[37:38], s[0:1], s2, v6, 0
	v_add_u32_e32 v15, 0x276, v12
	v_mad_u64_u32 v[13:14], s[0:1], s2, v15, 0
	v_mov_b32_e32 v26, v1
	v_lshlrev_b64 v[1:2], 2, v[25:26]
	v_mov_b32_e32 v3, v38
	v_mad_u64_u32 v[3:4], s[0:1], s3, v6, v[3:4]
	v_add_co_u32_e64 v1, s[0:1], v29, v1
	v_mov_b32_e32 v6, v14
	v_addc_co_u32_e64 v2, s[0:1], v33, v2, s[0:1]
	v_add_u32_e32 v17, 0x2b5, v12
	v_mov_b32_e32 v38, v3
	v_lshlrev_b64 v[3:4], 2, v[37:38]
	v_add_u32_e32 v19, 0x2f4, v12
	v_add_u32_e32 v21, 0x333, v12
	;; [unrolled: 1-line block ×5, first 2 shown]
	s_waitcnt vmcnt(1)
	v_mad_u64_u32 v[14:15], s[0:1], s3, v15, v[6:7]
	v_mad_u64_u32 v[15:16], s[0:1], s2, v17, 0
	v_add_co_u32_e64 v3, s[0:1], v29, v3
	v_mov_b32_e32 v6, v16
	v_addc_co_u32_e64 v4, s[0:1], v33, v4, s[0:1]
	v_mad_u64_u32 v[16:17], s[0:1], s3, v17, v[6:7]
	v_mad_u64_u32 v[17:18], s[0:1], s2, v19, 0
	v_lshlrev_b64 v[13:14], 2, v[13:14]
	v_lshlrev_b64 v[15:16], 2, v[15:16]
	v_add_co_u32_e64 v13, s[0:1], v29, v13
	v_mov_b32_e32 v6, v18
	v_addc_co_u32_e64 v14, s[0:1], v33, v14, s[0:1]
	v_mad_u64_u32 v[18:19], s[0:1], s3, v19, v[6:7]
	v_mad_u64_u32 v[19:20], s[0:1], s2, v21, 0
	v_add_co_u32_e64 v15, s[0:1], v29, v15
	v_mov_b32_e32 v6, v20
	v_addc_co_u32_e64 v16, s[0:1], v33, v16, s[0:1]
	v_mad_u64_u32 v[20:21], s[0:1], s3, v21, v[6:7]
	v_mad_u64_u32 v[21:22], s[0:1], s2, v23, 0
	v_lshlrev_b64 v[17:18], 2, v[17:18]
	v_lshlrev_b64 v[19:20], 2, v[19:20]
	v_add_co_u32_e64 v17, s[0:1], v29, v17
	v_mov_b32_e32 v6, v22
	v_addc_co_u32_e64 v18, s[0:1], v33, v18, s[0:1]
	v_mad_u64_u32 v[22:23], s[0:1], s3, v23, v[6:7]
	v_mad_u64_u32 v[23:24], s[0:1], s2, v25, 0
	v_add_co_u32_e64 v19, s[0:1], v29, v19
	v_lshlrev_b64 v[21:22], 2, v[21:22]
	v_mov_b32_e32 v6, v24
	v_addc_co_u32_e64 v20, s[0:1], v33, v20, s[0:1]
	v_mad_u64_u32 v[24:25], s[0:1], s3, v25, v[6:7]
	v_add_co_u32_e64 v21, s[0:1], v29, v21
	v_addc_co_u32_e64 v22, s[0:1], v33, v22, s[0:1]
	v_mad_u64_u32 v[25:26], s[0:1], s2, v27, 0
	v_lshlrev_b64 v[23:24], 2, v[23:24]
	v_add_co_u32_e64 v23, s[0:1], v29, v23
	v_mov_b32_e32 v6, v26
	v_addc_co_u32_e64 v24, s[0:1], v33, v24, s[0:1]
	v_mad_u64_u32 v[26:27], s[0:1], s3, v27, v[6:7]
	global_load_dword v37, v[1:2], off
	global_load_dword v38, v[3:4], off
	;; [unrolled: 1-line block ×8, first 2 shown]
	v_lshrrev_b32_e32 v4, 16, v0
	v_lshlrev_b64 v[1:2], 2, v[25:26]
	v_lshrrev_b32_e32 v6, 16, v36
	v_add_co_u32_e64 v1, s[0:1], v29, v1
	v_addc_co_u32_e64 v2, s[0:1], v33, v2, s[0:1]
	global_load_dword v45, v[1:2], off
	v_lshrrev_b32_e32 v15, 16, v34
	v_lshrrev_b32_e32 v16, 16, v32
	;; [unrolled: 1-line block ×5, first 2 shown]
	s_waitcnt vmcnt(9)
	v_lshrrev_b32_e32 v20, 16, v5
	s_waitcnt vmcnt(8)
	v_lshrrev_b32_e32 v21, 16, v37
	;; [unrolled: 2-line block ×10, first 2 shown]
.LBB0_12:
	s_or_b64 exec, exec, s[14:15]
	v_mov_b32_e32 v13, v12
.LBB0_13:
	s_or_b64 exec, exec, s[6:7]
	v_sub_f16_e32 v53, v6, v29
	s_mov_b32 s0, 0xbbf7ba62
	v_add_f16_e32 v1, v36, v45
	v_sub_f16_e32 v55, v15, v24
	s_mov_b32 s6, 0x2de8b8d2
	v_pk_mul_f16 v2, v53, s0 op_sel_hi:[0,1]
	s_mov_b32 s0, 0xb1e13bb2
	v_add_f16_e32 v54, v34, v44
	v_sub_f16_e32 v57, v16, v25
	v_pk_fma_f16 v3, v1, s6, v2 op_sel_hi:[0,1,1] neg_lo:[0,0,1] neg_hi:[0,0,1]
	s_mov_b32 s7, 0xbbddb461
	v_pk_mul_f16 v46, v55, s0 op_sel_hi:[0,1]
	s_mov_b32 s0, 0x3bb2b5c8
	v_add_f16_e32 v56, v32, v43
	v_pk_add_f16 v3, v0, v3 op_sel_hi:[0,1]
	v_pk_fma_f16 v14, v54, s7, v46 op_sel_hi:[0,1,1] neg_lo:[0,0,1] neg_hi:[0,0,1]
	s_mov_b32 s8, 0xb4613b76
	v_pk_mul_f16 v47, v57, s0 op_sel_hi:[0,1]
	s_mov_b32 s0, 0x35c8b836
	v_sub_f16_e32 v72, v17, v26
	v_pk_add_f16 v3, v3, v14
	v_pk_fma_f16 v14, v56, s8, v47 op_sel_hi:[0,1,1] neg_lo:[0,0,1] neg_hi:[0,0,1]
	s_mov_b32 s9, 0x3b76bacd
	v_add_f16_e32 v71, v31, v42
	v_pk_mul_f16 v48, v72, s0 op_sel_hi:[0,1]
	s_mov_b32 s0, 0xbb293bf7
	v_sub_f16_e32 v77, v18, v27
	v_pk_add_f16 v3, v3, v14
	v_pk_fma_f16 v14, v71, s9, v48 op_sel_hi:[0,1,1] neg_lo:[0,0,1] neg_hi:[0,0,1]
	s_mov_b32 s14, 0x37222de8
	v_add_f16_e32 v76, v30, v41
	;; [unrolled: 7-line block ×5, first 2 shown]
	v_pk_mul_f16 v52, v83, s0 op_sel_hi:[0,1]
	v_pk_add_f16 v3, v3, v14
	v_pk_fma_f16 v14, v82, s17, v52 op_sel_hi:[0,1,1] neg_lo:[0,0,1] neg_hi:[0,0,1]
	s_mov_b32 s0, 0xbbddbacd
	v_pk_add_f16 v14, v14, v3
	s_mov_b32 s1, 0xb1e1b836
	v_pk_mul_f16 v3, v1, s0 op_sel_hi:[0,1]
	s_mov_b32 s0, 0x3b763722
	v_pk_fma_f16 v33, v53, s1, v3 op_sel_hi:[0,1,1]
	s_mov_b32 s2, 0x35c83b29
	v_pk_mul_f16 v35, v54, s0 op_sel_hi:[0,1]
	v_pk_add_f16 v33, v0, v33 op_sel_hi:[0,1]
	v_pk_fma_f16 v58, v55, s2, v35 op_sel_hi:[0,1,1]
	v_pk_mul_f16 v59, v53, s1 op_sel_hi:[0,1]
	v_pk_add_f16 v33, v33, v58
	v_sub_f16_sdwa v58, v3, v59 dst_sel:DWORD dst_unused:UNUSED_PAD src0_sel:WORD_1 src1_sel:WORD_1
	v_pk_mul_f16 v62, v55, s2 op_sel_hi:[0,1]
	s_mov_b32 s0, 0xbacd2de8
	v_add_f16_e32 v58, v0, v58
	v_sub_f16_sdwa v60, v35, v62 dst_sel:DWORD dst_unused:UNUSED_PAD src0_sel:WORD_1 src1_sel:WORD_1
	s_mov_b32 s1, 0xb836bbf7
	v_pk_mul_f16 v63, v56, s0 op_sel_hi:[0,1]
	v_add_f16_e32 v58, v58, v60
	v_pk_fma_f16 v60, v57, s1, v63 op_sel_hi:[0,1,1]
	v_pk_mul_f16 v65, v57, s1 op_sel_hi:[0,1]
	s_mov_b32 s0, 0x39e9b8d2
	v_pk_add_f16 v33, v33, v60
	v_sub_f16_sdwa v60, v63, v65 dst_sel:DWORD dst_unused:UNUSED_PAD src0_sel:WORD_1 src1_sel:WORD_1
	s_mov_b32 s1, 0x39643a62
	v_pk_mul_f16 v66, v71, s0 op_sel_hi:[0,1]
	v_add_f16_e32 v58, v58, v60
	v_pk_fma_f16 v60, v72, s1, v66 op_sel_hi:[0,1,1]
	v_pk_mul_f16 v67, v72, s1 op_sel_hi:[0,1]
	s_mov_b32 s0, 0xb8d23b76
	v_pk_add_f16 v33, v33, v60
	;; [unrolled: 8-line block ×4, first 2 shown]
	v_sub_f16_sdwa v60, v70, v73 dst_sel:DWORD dst_unused:UNUSED_PAD src0_sel:WORD_1 src1_sel:WORD_1
	s_mov_b32 s1, 0xbbb23964
	v_pk_mul_f16 v74, v80, s0 op_sel_hi:[0,1]
	v_add_f16_e32 v58, v60, v58
	v_pk_fma_f16 v60, v81, s1, v74 op_sel_hi:[0,1,1]
	v_pk_add_f16 v84, v33, v60
	v_pk_mul_f16 v33, v81, s1 op_sel_hi:[0,1]
	v_sub_f16_sdwa v60, v74, v33 dst_sel:DWORD dst_unused:UNUSED_PAD src0_sel:WORD_1 src1_sel:WORD_1
	v_add_f16_e32 v85, v58, v60
	v_mul_f16_e32 v58, 0xb461, v1
	v_mul_f16_e32 v60, 0xbbb2, v53
	v_pack_b32_f16 v3, v58, v3
	v_pack_b32_f16 v59, v60, v59
	v_pk_add_f16 v3, v3, v59 neg_lo:[0,1] neg_hi:[0,1]
	v_mul_f16_e32 v59, 0xbacd, v54
	v_mul_f16_e32 v61, 0x3836, v55
	v_pack_b32_f16 v35, v59, v35
	v_pack_b32_f16 v62, v61, v62
	v_pk_add_f16 v35, v35, v62 neg_lo:[0,1] neg_hi:[0,1]
	v_pk_add_f16 v3, v0, v3 op_sel_hi:[0,1]
	v_mul_f16_e32 v62, 0x39e9, v56
	v_mul_f16_e32 v64, 0x3964, v57
	v_pk_add_f16 v3, v3, v35
	v_pack_b32_f16 v35, v62, v63
	v_pack_b32_f16 v63, v64, v65
	v_pk_add_f16 v35, v35, v63 neg_lo:[0,1] neg_hi:[0,1]
	v_mul_f16_e32 v63, 0x3722, v71
	v_pk_add_f16 v3, v3, v35
	v_pack_b32_f16 v35, v63, v66
	v_mul_f16_e32 v66, 0xbb29, v72
	v_pack_b32_f16 v65, v66, v67
	v_pk_add_f16 v35, v35, v65 neg_lo:[0,1] neg_hi:[0,1]
	v_mul_f16_e32 v65, 0xbbdd, v76
	v_pk_add_f16 v3, v3, v35
	v_pack_b32_f16 v35, v65, v68
	v_mul_f16_e32 v68, 0xb1e1, v77
	;; [unrolled: 6-line block ×3, first 2 shown]
	v_pack_b32_f16 v69, v70, v73
	v_pk_add_f16 v35, v35, v69 neg_lo:[0,1] neg_hi:[0,1]
	v_mul_f16_e32 v69, 0x3b76, v80
	v_mul_f16_e32 v73, 0xb5c8, v81
	v_pk_add_f16 v3, v35, v3
	v_pack_b32_f16 v35, v69, v74
	v_pack_b32_f16 v33, v73, v33
	s_mov_b32 s0, 0x2de8b461
	s_mov_b32 s1, 0x3bf7bbb2
	v_pk_add_f16 v33, v35, v33 neg_lo:[0,1] neg_hi:[0,1]
	v_mul_f16_e32 v74, 0xb8d2, v82
	v_mul_f16_e32 v75, 0xba62, v83
	v_pk_mul_f16 v86, v82, s0 op_sel_hi:[0,1]
	v_pk_mul_f16 v35, v83, s1 op_sel_hi:[0,1]
	v_pk_add_f16 v3, v3, v33
	v_pack_b32_f16 v33, v74, v86
	v_pack_b32_f16 v87, v75, v35
	v_pk_add_f16 v33, v33, v87 neg_lo:[0,1] neg_hi:[0,1]
	v_pk_add_f16 v33, v33, v3
	v_sub_f16_sdwa v3, v86, v35 dst_sel:DWORD dst_unused:UNUSED_PAD src0_sel:WORD_1 src1_sel:WORD_1
	v_add_f16_e32 v35, v3, v85
	v_pk_fma_f16 v3, v83, s1, v86 op_sel_hi:[0,1,1]
	v_cmp_gt_u32_e64 s[2:3], 63, v12
	v_pk_add_f16 v3, v3, v84
	s_and_saveexec_b64 s[0:1], s[2:3]
	s_cbranch_execz .LBB0_15
; %bb.14:
	v_pack_b32_f16 v84, v1, v1
	v_pk_mul_f16 v89, v54, s7 op_sel_hi:[0,1]
	s_mov_b32 s7, 0x39e93b76
	v_pack_b32_f16 v86, v53, v53
	v_pk_mul_f16 v84, v84, s7
	s_mov_b32 s7, 0xb964b5c8
	v_pk_mul_f16 v110, v86, s7
	v_pk_mul_f16 v85, v1, s6 op_sel_hi:[0,1]
	s_mov_b32 s6, 0x5040100
	v_mul_f16_e32 v109, 0x3722, v1
	v_sub_f16_e32 v1, v84, v110
	v_perm_b32 v87, v0, v0, s6
	v_add_f16_e32 v1, v0, v1
	v_add_f16_e32 v0, v0, v36
	;; [unrolled: 1-line block ×8, first 2 shown]
	v_pack_b32_f16 v88, v54, v54
	v_pk_mul_f16 v92, v56, s8 op_sel_hi:[0,1]
	s_mov_b32 s8, 0x2de839e9
	v_add_f16_e32 v0, v0, v37
	v_pack_b32_f16 v90, v55, v55
	v_pack_b32_f16 v91, v56, v56
	v_pk_mul_f16 v95, v71, s9 op_sel_hi:[0,1]
	v_pk_mul_f16 v88, v88, s8
	s_mov_b32 s8, 0xbbf7b964
	s_mov_b32 s9, 0xb8d23722
	v_add_f16_e32 v0, v0, v38
	v_pack_b32_f16 v93, v57, v57
	v_pack_b32_f16 v94, v71, v71
	v_pk_mul_f16 v98, v76, s14 op_sel_hi:[0,1]
	v_pk_mul_f16 v111, v90, s8
	v_pk_mul_f16 v91, v91, s9
	s_mov_b32 s9, 0xba62bb29
	s_mov_b32 s14, 0xbbdd2de8
	v_add_f16_e32 v0, v0, v39
	v_pack_b32_f16 v96, v72, v72
	v_pack_b32_f16 v97, v76, v76
	v_pk_mul_f16 v101, v78, s15 op_sel_hi:[0,1]
	v_pk_mul_f16 v112, v93, s9
	v_pk_mul_f16 v94, v94, s14
	s_mov_b32 s14, 0xb1e1bbf7
	s_mov_b32 s15, 0xbacdb461
	v_sub_f16_e32 v118, v88, v111
	v_add_f16_e32 v0, v40, v0
	v_pack_b32_f16 v99, v77, v77
	v_pack_b32_f16 v100, v78, v78
	v_pk_mul_f16 v104, v80, s16 op_sel_hi:[0,1]
	v_pk_mul_f16 v113, v96, s14
	v_pk_mul_f16 v97, v97, s15
	s_mov_b32 s15, 0x3836bbb2
	s_mov_b32 s16, 0xb461b8d2
	v_add_f16_e32 v1, v1, v118
	v_sub_f16_e32 v118, v91, v112
	v_add_f16_e32 v0, v41, v0
	v_pack_b32_f16 v102, v79, v79
	v_pack_b32_f16 v103, v80, v80
	v_pk_mul_f16 v107, v82, s17 op_sel_hi:[0,1]
	v_pk_mul_f16 v114, v99, s15
	v_pk_mul_f16 v100, v100, s16
	s_mov_b32 s16, 0x3bb2ba62
	s_mov_b32 s17, 0x3722bacd
	v_add_f16_e32 v1, v1, v118
	v_sub_f16_e32 v118, v94, v113
	v_add_f16_e32 v0, v42, v0
	v_pack_b32_f16 v105, v81, v81
	v_pack_b32_f16 v106, v82, v82
	v_pk_mul_f16 v115, v102, s16
	v_pk_mul_f16 v103, v103, s17
	s_mov_b32 s17, 0x3b29b836
	s_mov_b32 s18, 0x3b76bbdd
	v_add_f16_e32 v1, v1, v118
	v_sub_f16_e32 v118, v97, v114
	v_add_f16_e32 v0, v43, v0
	v_pack_b32_f16 v108, v83, v83
	v_pk_mul_f16 v116, v105, s17
	v_pk_mul_f16 v106, v106, s18
	s_mov_b32 s18, 0x35c8b1e1
	v_add_f16_e32 v1, v1, v118
	v_sub_f16_e32 v118, v100, v115
	v_add_f16_e32 v0, v44, v0
	v_pk_mul_f16 v117, v108, s18
	v_add_f16_e32 v1, v118, v1
	v_sub_f16_e32 v118, v103, v116
	v_add_f16_e32 v0, v45, v0
	v_mad_u32_u24 v119, v12, 34, 0
	v_add_f16_e32 v1, v1, v118
	v_sub_f16_e32 v118, v106, v117
	ds_write_b16 v119, v0
	v_pk_fma_f16 v0, v86, s7, v84
	v_add_f16_e32 v118, v118, v1
	v_pk_add_f16 v0, v87, v0
	v_pk_fma_f16 v1, v90, s8, v88
	v_pk_add_f16 v0, v0, v1
	v_pk_fma_f16 v1, v93, s9, v91
	;; [unrolled: 2-line block ×6, first 2 shown]
	v_mul_f16_e32 v53, 0xbb29, v53
	v_pk_add_f16 v0, v0, v1
	v_pk_fma_f16 v1, v108, s18, v106
	s_mov_b32 s7, 0xffff
	v_mul_f16_e32 v54, 0xb8d2, v54
	v_mul_f16_e32 v55, 0xba62, v55
	v_pk_add_f16 v0, v1, v0
	v_bfi_b32 v1, s7, v53, v2
	v_bfi_b32 v86, s7, v109, v85
	v_perm_b32 v2, v2, v60, s6
	v_perm_b32 v58, v85, v58, s6
	v_pk_add_f16 v1, v1, v86
	v_bfi_b32 v86, s7, v55, v46
	v_bfi_b32 v90, s7, v54, v89
	v_pk_add_f16 v2, v2, v58
	v_perm_b32 v46, v46, v61, s6
	v_perm_b32 v58, v89, v59, s6
	v_mul_f16_e32 v56, 0xbbdd, v56
	v_mul_f16_e32 v57, 0x31e1, v57
	v_pk_add_f16 v1, v87, v1
	v_pk_add_f16 v86, v86, v90
	;; [unrolled: 1-line block ×5, first 2 shown]
	v_bfi_b32 v86, s7, v57, v47
	v_bfi_b32 v90, s7, v56, v92
	v_pk_add_f16 v2, v2, v46
	v_perm_b32 v46, v47, v64, s6
	v_perm_b32 v47, v92, v62, s6
	v_mul_f16_e32 v71, 0xb461, v71
	v_mul_f16_e32 v72, 0x3bb2, v72
	v_pk_add_f16 v86, v86, v90
	v_pk_add_f16 v46, v46, v47
	v_pk_add_f16 v1, v1, v86
	v_bfi_b32 v86, s7, v72, v48
	v_bfi_b32 v90, s7, v71, v95
	v_pk_add_f16 v2, v2, v46
	v_perm_b32 v46, v48, v66, s6
	v_perm_b32 v47, v95, v63, s6
	v_mul_f16_e32 v76, 0x39e9, v76
	v_mul_f16_e32 v77, 0x3964, v77
	v_pk_add_f16 v86, v86, v90
	v_pk_add_f16 v46, v46, v47
	v_pk_add_f16 v1, v1, v86
	;; [unrolled: 10-line block ×5, first 2 shown]
	v_bfi_b32 v86, s7, v83, v52
	v_bfi_b32 v90, s7, v82, v107
	v_pk_add_f16 v2, v2, v46
	v_perm_b32 v46, v52, v75, s6
	v_perm_b32 v47, v107, v74, s6
	v_pk_add_f16 v86, v86, v90
	v_pk_add_f16 v46, v46, v47
	;; [unrolled: 1-line block ×4, first 2 shown]
	ds_write_b128 v119, v[0:3] offset:2
	v_bfi_b32 v0, s7, v109, v84
	v_bfi_b32 v1, s7, v53, v110
	v_pk_add_f16 v0, v0, v1 neg_lo:[0,1] neg_hi:[0,1]
	v_bfi_b32 v1, s7, v54, v88
	v_bfi_b32 v2, s7, v55, v111
	v_pk_add_f16 v0, v87, v0
	v_pk_add_f16 v1, v1, v2 neg_lo:[0,1] neg_hi:[0,1]
	v_pk_add_f16 v0, v0, v1
	v_bfi_b32 v1, s7, v56, v91
	v_bfi_b32 v2, s7, v57, v112
	v_pk_add_f16 v1, v1, v2 neg_lo:[0,1] neg_hi:[0,1]
	v_pk_add_f16 v0, v0, v1
	v_bfi_b32 v1, s7, v71, v94
	v_bfi_b32 v2, s7, v72, v113
	;; [unrolled: 4-line block ×6, first 2 shown]
	v_pk_add_f16 v1, v1, v2 neg_lo:[0,1] neg_hi:[0,1]
	v_pk_add_f16 v0, v1, v0
	v_alignbit_b32 v49, v118, v0, 16
	v_alignbit_b32 v48, v0, v14, 16
	v_bfi_b32 v46, s7, v35, v33
	v_perm_b32 v47, v33, v14, s6
	ds_write_b128 v119, v[46:49] offset:18
.LBB0_15:
	s_or_b64 exec, exec, s[0:1]
	v_lshl_add_u32 v0, v12, 1, 0
	s_waitcnt lgkmcnt(0)
	s_barrier
	ds_read_u16 v1, v0
	ds_read_u16 v50, v0 offset:306
	ds_read_u16 v49, v0 offset:612
	;; [unrolled: 1-line block ×6, first 2 shown]
	v_cmp_gt_u32_e64 s[0:1], 34, v12
	s_and_saveexec_b64 s[6:7], s[0:1]
	s_cbranch_execz .LBB0_17
; %bb.16:
	ds_read_u16 v3, v0 offset:238
	ds_read_u16 v14, v0 offset:544
	;; [unrolled: 1-line block ×7, first 2 shown]
	s_mov_b32 s8, 0x5040100
	s_waitcnt lgkmcnt(5)
	v_perm_b32 v3, v14, v3, s8
	s_waitcnt lgkmcnt(2)
	v_perm_b32 v14, v33, v52, s8
	;; [unrolled: 2-line block ×3, first 2 shown]
.LBB0_17:
	s_or_b64 exec, exec, s[6:7]
	v_sub_f16_e32 v45, v36, v45
	v_add_f16_e32 v51, v6, v29
	s_mov_b32 s6, 0xbacd
	v_mul_f16_e32 v64, 0xb836, v45
	v_sub_f16_e32 v44, v34, v44
	v_fma_f16 v36, v51, s6, v64
	v_add_f16_e32 v52, v15, v24
	s_movk_i32 s6, 0x3722
	v_mul_f16_e32 v66, 0x3b29, v44
	v_sub_f16_e32 v54, v32, v43
	v_add_f16_e32 v36, v4, v36
	v_fma_f16 v34, v52, s6, v66
	v_add_f16_e32 v53, v16, v25
	s_movk_i32 s6, 0x2de8
	v_mul_f16_e32 v67, 0xbbf7, v54
	v_sub_f16_e32 v56, v31, v42
	v_add_f16_e32 v34, v36, v34
	v_fma_f16 v36, v53, s6, v67
	v_add_f16_e32 v55, v17, v26
	s_mov_b32 s6, 0xb8d2
	v_mul_f16_e32 v69, 0x3a62, v56
	v_sub_f16_e32 v58, v30, v41
	v_add_f16_e32 v34, v34, v36
	v_fma_f16 v31, v55, s6, v69
	v_add_f16_e32 v57, v18, v27
	s_movk_i32 s6, 0x3b76
	v_mul_f16_e32 v71, 0xb5c8, v58
	v_sub_f16_e32 v60, v7, v40
	v_add_f16_e32 v31, v34, v31
	v_fma_f16 v30, v57, s6, v71
	v_add_f16_e32 v59, v19, v23
	s_mov_b32 s6, 0xbbdd
	v_mul_f16_e32 v72, 0xb1e1, v60
	v_sub_f16_e32 v62, v5, v39
	v_add_f16_e32 v30, v31, v30
	v_fma_f16 v31, v59, s6, v72
	v_add_f16_e32 v61, v20, v28
	s_movk_i32 s6, 0x39e9
	v_mul_f16_e32 v74, 0x3964, v62
	v_add_f16_e32 v30, v31, v30
	v_fma_f16 v5, v61, s6, v74
	s_mov_b32 s6, 0xbbf7bbb2
	v_add_f16_e32 v31, v30, v5
	s_mov_b32 s8, 0x2de8b461
	v_pk_mul_f16 v5, v45, s6 op_sel_hi:[0,1]
	s_mov_b32 s6, 0xb1e13836
	v_pk_fma_f16 v30, v51, s8, v5 op_sel_hi:[0,1,1]
	s_mov_b32 s9, 0xbbddbacd
	v_pk_mul_f16 v34, v44, s6 op_sel_hi:[0,1]
	v_pk_add_f16 v30, v4, v30 op_sel_hi:[0,1]
	v_pk_fma_f16 v36, v52, s9, v34 op_sel_hi:[0,1,1]
	s_mov_b32 s6, 0x3bb23964
	v_pk_add_f16 v30, v30, v36
	s_mov_b32 s14, 0xb46139e9
	v_pk_mul_f16 v36, v54, s6 op_sel_hi:[0,1]
	v_sub_f16_e32 v43, v37, v38
	v_pk_fma_f16 v37, v53, s14, v36 op_sel_hi:[0,1,1]
	s_mov_b32 s6, 0x35c8bb29
	v_pk_add_f16 v30, v30, v37
	s_mov_b32 s15, 0x3b763722
	v_pk_mul_f16 v37, v56, s6 op_sel_hi:[0,1]
	v_pk_fma_f16 v38, v55, s15, v37 op_sel_hi:[0,1,1]
	s_mov_b32 s6, 0xbb29b1e1
	v_pk_add_f16 v30, v30, v38
	s_mov_b32 s16, 0x3722bbdd
	v_pk_mul_f16 v38, v58, s6 op_sel_hi:[0,1]
	;; [unrolled: 5-line block ×4, first 2 shown]
	v_pk_fma_f16 v41, v61, s18, v40 op_sel_hi:[0,1,1]
	s_mov_b32 s6, 0x3964ba62
	v_add_f16_e32 v42, v21, v22
	v_pk_add_f16 v30, v30, v41
	v_pk_mul_f16 v41, v43, s6 op_sel_hi:[0,1]
	s_mov_b32 s6, 0xb461
	v_mul_f16_e32 v76, 0xbbb2, v43
	s_mov_b32 s7, 0xba62b1e1
	v_fma_f16 v77, v42, s6, v76
	s_mov_b32 s6, 0xb8d2bbdd
	v_pk_mul_f16 v78, v45, s7 op_sel_hi:[0,1]
	v_mul_f16_e32 v63, 0xbacd, v51
	v_add_f16_e32 v31, v77, v31
	v_pk_mul_f16 v77, v51, s6 op_sel_hi:[0,1]
	v_pk_fma_f16 v79, v51, s6, v78 op_sel_hi:[0,1,1]
	s_mov_b32 s6, 0xb4613b76
	s_mov_b32 s7, 0x3bb235c8
	v_mul_f16_e32 v65, 0x3722, v52
	v_pk_mul_f16 v80, v52, s6 op_sel_hi:[0,1]
	v_pk_mul_f16 v81, v44, s7 op_sel_hi:[0,1]
	v_pack_b32_f16 v63, v63, v77
	v_pack_b32_f16 v64, v64, v78
	v_pk_add_f16 v79, v4, v79 op_sel_hi:[0,1]
	v_pk_fma_f16 v82, v52, s6, v81 op_sel_hi:[0,1,1]
	s_mov_b32 s6, 0x3b76bacd
	s_mov_b32 s7, 0xb5c8b836
	v_pk_add_f16 v63, v63, v64 neg_lo:[0,1] neg_hi:[0,1]
	v_pack_b32_f16 v64, v65, v80
	v_pack_b32_f16 v65, v66, v81
	v_mul_f16_e32 v32, 0x2de8, v53
	v_pk_add_f16 v79, v79, v82
	v_pk_mul_f16 v82, v53, s6 op_sel_hi:[0,1]
	v_pk_mul_f16 v83, v54, s7 op_sel_hi:[0,1]
	v_pk_add_f16 v63, v4, v63 op_sel_hi:[0,1]
	v_pk_add_f16 v64, v64, v65 neg_lo:[0,1] neg_hi:[0,1]
	v_pk_fma_f16 v84, v53, s6, v83 op_sel_hi:[0,1,1]
	s_mov_b32 s6, 0xbacd39e9
	s_mov_b32 s7, 0xb8363964
	v_pk_add_f16 v63, v63, v64
	v_pack_b32_f16 v32, v32, v82
	v_pack_b32_f16 v64, v67, v83
	v_mul_f16_e32 v68, 0xb8d2, v55
	v_pk_add_f16 v79, v79, v84
	v_pk_mul_f16 v84, v55, s6 op_sel_hi:[0,1]
	v_pk_mul_f16 v85, v56, s7 op_sel_hi:[0,1]
	v_pk_add_f16 v32, v32, v64 neg_lo:[0,1] neg_hi:[0,1]
	v_pk_fma_f16 v86, v55, s6, v85 op_sel_hi:[0,1,1]
	s_mov_b32 s6, 0x2de8b8d2
	s_mov_b32 s7, 0x3bf7ba62
	v_pk_add_f16 v32, v63, v32
	v_pack_b32_f16 v63, v68, v84
	v_pack_b32_f16 v64, v69, v85
	v_mul_f16_e32 v70, 0x3b76, v57
	v_pk_add_f16 v79, v79, v86
	v_pk_mul_f16 v86, v57, s6 op_sel_hi:[0,1]
	v_pk_mul_f16 v87, v58, s7 op_sel_hi:[0,1]
	;; [unrolled: 11-line block ×3, first 2 shown]
	v_pk_add_f16 v63, v63, v64 neg_lo:[0,1] neg_hi:[0,1]
	v_pk_fma_f16 v90, v59, s6, v89 op_sel_hi:[0,1,1]
	s_mov_b32 s6, 0xbbddb461
	s_mov_b32 s7, 0xb1e1bbb2
	v_pk_add_f16 v32, v32, v63
	v_pack_b32_f16 v7, v7, v88
	v_pack_b32_f16 v63, v72, v89
	v_mul_f16_e32 v73, 0x39e9, v61
	s_mov_b32 s19, 0x39e9b8d2
	v_pk_add_f16 v79, v90, v79
	v_pk_mul_f16 v90, v61, s6 op_sel_hi:[0,1]
	v_pk_mul_f16 v91, v62, s7 op_sel_hi:[0,1]
	v_pk_add_f16 v7, v7, v63 neg_lo:[0,1] neg_hi:[0,1]
	v_pk_fma_f16 v75, v42, s19, v41 op_sel_hi:[0,1,1]
	v_pk_fma_f16 v92, v61, s6, v91 op_sel_hi:[0,1,1]
	s_mov_b32 s6, 0x37222de8
	s_mov_b32 s7, 0x3b293bf7
	v_pk_add_f16 v7, v7, v32
	v_pack_b32_f16 v32, v73, v90
	v_pack_b32_f16 v63, v74, v91
	v_pk_add_f16 v30, v75, v30
	v_mul_f16_e32 v75, 0xb461, v42
	v_pk_add_f16 v79, v79, v92
	v_pk_mul_f16 v92, v42, s6 op_sel_hi:[0,1]
	v_pk_mul_f16 v93, v43, s7 op_sel_hi:[0,1]
	v_pk_add_f16 v32, v32, v63 neg_lo:[0,1] neg_hi:[0,1]
	v_pk_add_f16 v7, v7, v32
	v_pack_b32_f16 v32, v75, v92
	v_pack_b32_f16 v63, v76, v93
	v_pk_fma_f16 v94, v42, s6, v93 op_sel_hi:[0,1,1]
	v_pk_add_f16 v32, v32, v63 neg_lo:[0,1] neg_hi:[0,1]
	v_pk_add_f16 v7, v32, v7
	v_pk_add_f16 v32, v94, v79
	s_waitcnt lgkmcnt(0)
	s_barrier
	s_and_saveexec_b64 s[6:7], s[2:3]
	s_cbranch_execz .LBB0_19
; %bb.18:
	v_add_f16_e32 v6, v4, v6
	v_add_f16_e32 v6, v6, v15
	;; [unrolled: 1-line block ×14, first 2 shown]
	v_pack_b32_f16 v63, v51, v51
	v_pack_b32_f16 v64, v45, v45
	v_pk_mul_f16 v80, v51, s8 op_sel_hi:[0,1]
	v_add_f16_e32 v6, v24, v6
	s_mov_b32 s3, 0x39e93b76
	s_mov_b32 s8, 0xb964b5c8
	v_pack_b32_f16 v67, v44, v44
	v_add_f16_e32 v15, v29, v6
	v_mul_f16_e32 v18, 0xba62, v44
	v_pk_mul_f16 v29, v63, s3
	v_pk_mul_f16 v44, v64, s8
	s_mov_b32 s2, 0x5040100
	v_mul_f16_e32 v16, 0xbb29, v45
	v_add_f16_e32 v45, v29, v44
	v_perm_b32 v65, v4, v4, s2
	v_pack_b32_f16 v66, v52, v52
	v_add_f16_e32 v4, v4, v45
	v_pk_fma_f16 v45, v63, s3, v44 neg_lo:[0,0,1] neg_hi:[0,0,1]
	s_mov_b32 s3, 0x2de839e9
	s_mov_b32 s8, 0xbbf7b964
	v_pk_mul_f16 v81, v52, s9 op_sel_hi:[0,1]
	v_mul_f16_e32 v6, 0x3722, v51
	v_mul_f16_e32 v17, 0xb8d2, v52
	v_pk_mul_f16 v51, v66, s3
	v_pk_mul_f16 v52, v67, s8
	v_pack_b32_f16 v68, v53, v53
	v_pk_mul_f16 v82, v53, s14 op_sel_hi:[0,1]
	v_mul_f16_e32 v19, 0xbbdd, v53
	v_add_f16_e32 v53, v51, v52
	v_pack_b32_f16 v69, v54, v54
	v_pk_add_f16 v45, v65, v45
	v_add_f16_e32 v4, v4, v53
	v_pk_fma_f16 v53, v66, s3, v52 neg_lo:[0,0,1] neg_hi:[0,0,1]
	s_mov_b32 s3, 0xb8d23722
	s_mov_b32 s8, 0xba62bb29
	v_mul_f16_e32 v20, 0x31e1, v54
	v_pk_add_f16 v45, v45, v53
	v_pk_mul_f16 v53, v68, s3
	v_pk_mul_f16 v54, v69, s8
	v_pack_b32_f16 v70, v55, v55
	v_pk_mul_f16 v83, v55, s15 op_sel_hi:[0,1]
	v_mul_f16_e32 v21, 0xb461, v55
	v_add_f16_e32 v55, v53, v54
	v_pack_b32_f16 v71, v56, v56
	v_add_f16_e32 v4, v4, v55
	v_pk_fma_f16 v55, v68, s3, v54 neg_lo:[0,0,1] neg_hi:[0,0,1]
	s_mov_b32 s3, 0xbbdd2de8
	s_mov_b32 s8, 0xb1e1bbf7
	v_mul_f16_e32 v22, 0x3bb2, v56
	v_pk_add_f16 v45, v45, v55
	v_pk_mul_f16 v55, v70, s3
	v_pk_mul_f16 v56, v71, s8
	v_pack_b32_f16 v72, v57, v57
	v_pk_mul_f16 v84, v57, s16 op_sel_hi:[0,1]
	v_mul_f16_e32 v23, 0x39e9, v57
	v_add_f16_e32 v57, v55, v56
	v_pack_b32_f16 v73, v58, v58
	;; [unrolled: 13-line block ×4, first 2 shown]
	v_add_f16_e32 v4, v61, v4
	v_pk_fma_f16 v61, v74, s3, v60 neg_lo:[0,0,1] neg_hi:[0,0,1]
	s_mov_b32 s3, 0x3722bacd
	s_mov_b32 s8, 0x3b29b836
	v_mul_f16_e32 v28, 0xbbf7, v62
	v_pk_add_f16 v45, v61, v45
	v_pk_mul_f16 v61, v76, s3
	v_pk_mul_f16 v62, v77, s8
	v_pack_b32_f16 v79, v43, v43
	v_add_f16_e32 v88, v61, v62
	s_mov_b32 s8, 0x35c8b1e1
	v_pack_b32_f16 v78, v42, v42
	v_add_f16_e32 v4, v4, v88
	v_pk_fma_f16 v88, v76, s3, v62 neg_lo:[0,0,1] neg_hi:[0,0,1]
	s_mov_b32 s3, 0x3b76bbdd
	v_pk_mul_f16 v89, v79, s8
	v_pk_add_f16 v45, v45, v88
	v_pk_mul_f16 v88, v78, s3
	v_pk_fma_f16 v90, v78, s3, v89 neg_lo:[0,0,1] neg_hi:[0,0,1]
	s_mov_b32 s3, 0xffff
	v_bfi_b32 v29, s3, v6, v29
	v_bfi_b32 v6, s3, v6, v80
	;; [unrolled: 1-line block ×4, first 2 shown]
	v_pk_add_f16 v5, v6, v5 neg_lo:[0,1] neg_hi:[0,1]
	v_bfi_b32 v6, s3, v17, v81
	v_bfi_b32 v16, s3, v18, v34
	v_add_f16_e32 v91, v88, v89
	v_pk_add_f16 v5, v65, v5
	v_pk_add_f16 v6, v6, v16 neg_lo:[0,1] neg_hi:[0,1]
	v_add_f16_e32 v91, v91, v4
	v_pk_add_f16 v4, v90, v45
	v_pk_add_f16 v29, v29, v44
	v_bfi_b32 v44, s3, v17, v51
	v_bfi_b32 v45, s3, v18, v52
	v_pk_add_f16 v5, v5, v6
	v_bfi_b32 v6, s3, v19, v82
	v_bfi_b32 v16, s3, v20, v36
	v_pk_add_f16 v29, v65, v29
	v_pk_add_f16 v44, v44, v45
	v_pk_add_f16 v6, v6, v16 neg_lo:[0,1] neg_hi:[0,1]
	v_pk_add_f16 v29, v29, v44
	v_bfi_b32 v44, s3, v19, v53
	v_bfi_b32 v45, s3, v20, v54
	v_pk_add_f16 v5, v5, v6
	v_bfi_b32 v6, s3, v21, v83
	v_bfi_b32 v16, s3, v22, v37
	v_pk_add_f16 v44, v44, v45
	v_pk_add_f16 v6, v6, v16 neg_lo:[0,1] neg_hi:[0,1]
	v_pk_add_f16 v29, v29, v44
	v_bfi_b32 v44, s3, v21, v55
	v_bfi_b32 v45, s3, v22, v56
	v_pk_add_f16 v5, v5, v6
	v_bfi_b32 v6, s3, v23, v84
	v_bfi_b32 v16, s3, v24, v38
	;; [unrolled: 8-line block ×4, first 2 shown]
	v_pk_mul_f16 v87, v42, s19 op_sel_hi:[0,1]
	v_mul_f16_e32 v42, 0xbacd, v42
	v_mul_f16_e32 v43, 0xb836, v43
	v_pk_add_f16 v44, v44, v45
	v_pk_add_f16 v6, v6, v16 neg_lo:[0,1] neg_hi:[0,1]
	v_pk_add_f16 v29, v44, v29
	v_bfi_b32 v44, s3, v27, v61
	v_bfi_b32 v45, s3, v28, v62
	v_pk_add_f16 v5, v5, v6
	v_bfi_b32 v6, s3, v42, v87
	v_bfi_b32 v16, s3, v43, v41
	v_pk_add_f16 v44, v44, v45
	v_pk_add_f16 v6, v6, v16 neg_lo:[0,1] neg_hi:[0,1]
	s_mov_b32 s8, 0x3a623bb2
	v_pk_add_f16 v29, v29, v44
	v_bfi_b32 v44, s3, v42, v88
	v_bfi_b32 v45, s3, v43, v89
	v_pk_add_f16 v5, v6, v5
	s_mov_b32 s3, 0xb8d2b461
	v_pk_mul_f16 v6, v64, s8
	s_mov_b32 s8, 0xbbb2b836
	v_pk_fma_f16 v6, v63, s3, v6
	s_mov_b32 s3, 0xb461bacd
	v_pk_mul_f16 v16, v67, s8
	v_pk_add_f16 v6, v65, v6
	v_pk_fma_f16 v16, v66, s3, v16
	s_mov_b32 s8, 0x35c8b964
	v_pk_add_f16 v6, v6, v16
	s_mov_b32 s3, 0x3b7639e9
	v_pk_mul_f16 v16, v69, s8
	v_pk_fma_f16 v16, v68, s3, v16
	s_mov_b32 s8, 0x38363b29
	v_pk_add_f16 v6, v6, v16
	s_mov_b32 s3, 0xbacd3722
	v_pk_mul_f16 v16, v71, s8
	v_pk_fma_f16 v16, v70, s3, v16
	s_mov_b32 s8, 0xbbf731e1
	v_pk_add_f16 v6, v6, v16
	s_mov_b32 s3, 0x2de8bbdd
	v_pk_mul_f16 v16, v73, s8
	v_pk_fma_f16 v16, v72, s3, v16
	s_mov_b32 s8, 0x3964bbf7
	v_pk_add_f16 v6, v6, v16
	s_mov_b32 s3, 0x39e92de8
	v_pk_mul_f16 v16, v75, s8
	v_pk_fma_f16 v16, v74, s3, v16
	s_mov_b32 s8, 0x31e135c8
	v_pk_add_f16 v6, v16, v6
	s_mov_b32 s3, 0xbbdd3b76
	v_pk_mul_f16 v16, v77, s8
	v_pk_fma_f16 v16, v76, s3, v16
	s_mov_b32 s8, 0xbb293a62
	v_pk_add_f16 v44, v44, v45
	v_pk_add_f16 v6, v6, v16
	s_mov_b32 s3, 0x3722b8d2
	v_pk_mul_f16 v16, v79, s8
	v_pk_add_f16 v29, v44, v29
	v_pk_fma_f16 v16, v78, s3, v16
	v_lshl_add_u32 v19, v12, 5, v0
	v_pk_add_f16 v6, v16, v6
	ds_write_b16 v19, v15
	ds_write_b128 v19, v[4:7] offset:2
	v_alignbit_b32 v18, v91, v29, 16
	v_alignbit_b32 v17, v29, v30, 16
	v_perm_b32 v15, v31, v32, s2
	v_alignbit_b32 v16, v30, v32, 16
	ds_write_b128 v19, v[15:18] offset:18
.LBB0_19:
	s_or_b64 exec, exec, s[6:7]
	s_waitcnt lgkmcnt(0)
	s_barrier
	ds_read_u16 v6, v0
	ds_read_u16 v21, v0 offset:306
	ds_read_u16 v20, v0 offset:612
	;; [unrolled: 1-line block ×6, first 2 shown]
	v_lshrrev_b32_e32 v18, 16, v7
	s_and_saveexec_b64 s[2:3], s[0:1]
	s_cbranch_execz .LBB0_21
; %bb.20:
	ds_read_u16 v7, v0 offset:238
	ds_read_u16 v18, v0 offset:544
	;; [unrolled: 1-line block ×7, first 2 shown]
	s_mov_b32 s6, 0x5040100
	s_waitcnt lgkmcnt(3)
	v_perm_b32 v32, v5, v4, s6
	s_waitcnt lgkmcnt(1)
	v_perm_b32 v30, v23, v22, s6
.LBB0_21:
	s_or_b64 exec, exec, s[2:3]
	s_movk_i32 s2, 0xf1
	v_mul_lo_u16_sdwa v4, v12, s2 dst_sel:DWORD dst_unused:UNUSED_PAD src0_sel:BYTE_0 src1_sel:DWORD
	v_lshrrev_b16_e32 v45, 12, v4
	v_mul_lo_u16_e32 v4, 17, v45
	v_sub_u16_e32 v53, v12, v4
	v_mov_b32_e32 v26, 6
	v_mul_u32_u24_sdwa v4, v53, v26 dst_sel:DWORD dst_unused:UNUSED_PAD src0_sel:BYTE_0 src1_sel:DWORD
	v_add_u16_e32 v27, 0x77, v12
	v_lshlrev_b32_e32 v5, 2, v4
	v_mul_lo_u16_sdwa v4, v27, s2 dst_sel:DWORD dst_unused:UNUSED_PAD src0_sel:BYTE_0 src1_sel:DWORD
	v_lshrrev_b16_e32 v4, 12, v4
	v_mul_lo_u16_e32 v28, 17, v4
	global_load_dwordx4 v[22:25], v5, s[12:13]
	global_load_dwordx2 v[43:44], v5, s[12:13] offset:16
	v_sub_u16_e32 v5, v27, v28
	v_mul_u32_u24_sdwa v26, v5, v26 dst_sel:DWORD dst_unused:UNUSED_PAD src0_sel:BYTE_0 src1_sel:DWORD
	v_lshlrev_b32_e32 v34, 2, v26
	global_load_dwordx4 v[26:29], v34, s[12:13]
	global_load_dwordx2 v[51:52], v34, s[12:13] offset:16
	v_lshrrev_b32_e32 v55, 16, v33
	v_lshrrev_b32_e32 v56, 16, v32
	;; [unrolled: 1-line block ×4, first 2 shown]
	s_movk_i32 s6, 0x2b26
	s_mov_b32 s8, 0xbcab
	s_mov_b32 s14, 0xb9e0
	s_movk_i32 s17, 0x3574
	s_mov_b32 s7, 0xbb00
	s_movk_i32 s9, 0x39e0
	s_mov_b32 s15, 0xb574
	s_mov_b32 s16, 0xb70e
	v_lshrrev_b32_e32 v58, 16, v30
	s_waitcnt vmcnt(0) lgkmcnt(0)
	s_barrier
	v_mul_f16_sdwa v34, v21, v22 dst_sel:DWORD dst_unused:UNUSED_PAD src0_sel:DWORD src1_sel:WORD_1
	v_mul_f16_sdwa v36, v50, v22 dst_sel:DWORD dst_unused:UNUSED_PAD src0_sel:DWORD src1_sel:WORD_1
	;; [unrolled: 1-line block ×14, first 2 shown]
	v_fma_f16 v34, v50, v22, v34
	v_fma_f16 v38, v21, v22, -v36
	v_fma_f16 v36, v49, v23, v37
	v_fma_f16 v37, v48, v24, v40
	v_fma_f16 v40, v19, v24, -v41
	v_fma_f16 v41, v47, v25, v42
	v_fma_f16 v42, v46, v43, v60
	;; [unrolled: 1-line block ×3, first 2 shown]
	v_mul_f16_sdwa v65, v54, v26 dst_sel:DWORD dst_unused:UNUSED_PAD src0_sel:DWORD src1_sel:WORD_1
	v_mul_f16_sdwa v66, v32, v27 dst_sel:DWORD dst_unused:UNUSED_PAD src0_sel:DWORD src1_sel:WORD_1
	;; [unrolled: 1-line block ×6, first 2 shown]
	v_fma_f16 v39, v20, v23, -v39
	v_fma_f16 v17, v17, v25, -v59
	;; [unrolled: 1-line block ×5, first 2 shown]
	v_fma_f16 v25, v14, v29, v70
	v_add_f16_e32 v14, v34, v2
	v_add_f16_e32 v31, v36, v42
	v_mul_f16_sdwa v64, v18, v26 dst_sel:DWORD dst_unused:UNUSED_PAD src0_sel:DWORD src1_sel:WORD_1
	v_mul_f16_sdwa v73, v33, v51 dst_sel:DWORD dst_unused:UNUSED_PAD src0_sel:DWORD src1_sel:WORD_1
	v_fma_f16 v22, v18, v26, -v65
	v_fma_f16 v20, v35, v27, v66
	v_fma_f16 v23, v32, v27, -v67
	v_fma_f16 v27, v33, v51, v72
	v_sub_f16_e32 v18, v38, v15
	v_sub_f16_e32 v32, v39, v16
	v_add_f16_e32 v33, v37, v41
	v_sub_f16_e32 v35, v17, v40
	v_add_f16_e32 v43, v31, v14
	v_sub_f16_e32 v44, v31, v14
	v_sub_f16_e32 v14, v14, v33
	;; [unrolled: 1-line block ×3, first 2 shown]
	v_add_f16_e32 v46, v35, v32
	v_sub_f16_e32 v47, v35, v32
	v_sub_f16_e32 v32, v32, v18
	v_add_f16_e32 v33, v33, v43
	v_sub_f16_e32 v35, v18, v35
	v_add_f16_e32 v18, v46, v18
	v_mul_f16_e32 v14, 0x3a52, v14
	v_mul_f16_e32 v46, 0x3846, v47
	v_add_f16_e32 v47, v1, v33
	v_mul_f16_e32 v1, 0xbb00, v32
	v_mul_f16_e32 v43, 0x2b26, v31
	v_fma_f16 v33, v33, s8, v47
	v_fma_f16 v31, v31, s6, v14
	v_fma_f16 v14, v44, s14, -v14
	v_fma_f16 v1, v35, s17, -v1
	v_fma_f16 v43, v44, s9, -v43
	v_fma_f16 v44, v35, s15, v46
	v_fma_f16 v32, v32, s7, -v46
	v_add_f16_e32 v14, v14, v33
	v_fma_f16 v1, v18, s16, v1
	v_add_f16_e32 v31, v31, v33
	v_add_f16_e32 v35, v43, v33
	v_fma_f16 v33, v18, s16, v44
	v_fma_f16 v32, v18, s16, v32
	v_add_f16_e32 v43, v1, v14
	v_sub_f16_e32 v14, v14, v1
	v_mov_b32_e32 v1, 1
	v_mul_f16_sdwa v74, v58, v52 dst_sel:DWORD dst_unused:UNUSED_PAD src0_sel:DWORD src1_sel:WORD_1
	v_mul_f16_sdwa v75, v57, v52 dst_sel:DWORD dst_unused:UNUSED_PAD src0_sel:DWORD src1_sel:WORD_1
	v_add_f16_e32 v18, v33, v31
	v_sub_f16_e32 v44, v35, v32
	v_add_f16_e32 v32, v32, v35
	v_sub_f16_e32 v33, v31, v33
	v_mul_u32_u24_e32 v31, 0xee, v45
	v_lshlrev_b32_sdwa v35, v1, v53 dst_sel:DWORD dst_unused:UNUSED_PAD src0_sel:DWORD src1_sel:BYTE_0
	v_fma_f16 v19, v54, v26, v64
	v_fma_f16 v21, v55, v28, v68
	v_fma_f16 v26, v56, v29, -v71
	v_fma_f16 v28, v30, v51, -v73
	v_fma_f16 v29, v57, v52, v74
	v_fma_f16 v30, v58, v52, -v75
	v_add3_u32 v31, 0, v31, v35
	ds_write_b16 v31, v47
	ds_write_b16 v31, v18 offset:34
	ds_write_b16 v31, v43 offset:68
	;; [unrolled: 1-line block ×6, first 2 shown]
	s_and_saveexec_b64 s[2:3], s[0:1]
	s_cbranch_execz .LBB0_23
; %bb.22:
	v_add_f16_e32 v14, v19, v29
	v_add_f16_e32 v33, v20, v27
	;; [unrolled: 1-line block ×4, first 2 shown]
	v_sub_f16_e32 v45, v26, v24
	v_sub_f16_e32 v47, v23, v28
	;; [unrolled: 1-line block ×4, first 2 shown]
	v_add_f16_e32 v18, v18, v44
	v_sub_f16_e32 v44, v22, v30
	v_sub_f16_e32 v48, v45, v47
	v_mul_f16_e32 v32, 0x3a52, v32
	v_mul_f16_e32 v43, 0x2b26, v35
	v_add_f16_e32 v3, v3, v18
	v_sub_f16_e32 v46, v44, v45
	v_mul_f16_e32 v48, 0x3846, v48
	v_add_f16_e32 v45, v45, v47
	v_sub_f16_e32 v14, v33, v14
	v_sub_f16_e32 v33, v47, v44
	v_fma_f16 v35, v35, s6, v32
	v_fma_f16 v18, v18, s8, v3
	;; [unrolled: 1-line block ×3, first 2 shown]
	v_add_f16_e32 v45, v45, v44
	v_fma_f16 v32, v14, s14, -v32
	v_mul_f16_e32 v44, 0xbb00, v33
	v_fma_f16 v33, v33, s7, -v48
	v_fma_f16 v14, v14, s9, -v43
	v_add_f16_e32 v35, v35, v18
	v_fma_f16 v49, v45, s16, v49
	v_fma_f16 v33, v45, s16, v33
	v_add_f16_e32 v14, v14, v18
	v_sub_f16_e32 v50, v35, v49
	v_add_f16_e32 v32, v32, v18
	v_fma_f16 v44, v46, s17, -v44
	v_add_f16_e32 v18, v33, v14
	v_sub_f16_e32 v14, v14, v33
	v_add_f16_e32 v33, v49, v35
	v_mul_u32_u24_e32 v35, 0xee, v4
	v_lshlrev_b32_sdwa v1, v1, v5 dst_sel:DWORD dst_unused:UNUSED_PAD src0_sel:DWORD src1_sel:BYTE_0
	v_fma_f16 v44, v45, s16, v44
	v_add3_u32 v1, 0, v35, v1
	v_sub_f16_e32 v46, v32, v44
	v_add_f16_e32 v32, v44, v32
	ds_write_b16 v1, v3
	ds_write_b16 v1, v33 offset:34
	ds_write_b16 v1, v32 offset:68
	;; [unrolled: 1-line block ×6, first 2 shown]
.LBB0_23:
	s_or_b64 exec, exec, s[2:3]
	v_add_f16_e32 v1, v38, v15
	v_add_f16_e32 v3, v39, v16
	v_sub_f16_e32 v2, v34, v2
	v_sub_f16_e32 v14, v36, v42
	v_add_f16_e32 v15, v40, v17
	v_sub_f16_e32 v16, v41, v37
	v_add_f16_e32 v17, v3, v1
	v_sub_f16_e32 v18, v3, v1
	v_sub_f16_e32 v1, v1, v15
	;; [unrolled: 1-line block ×3, first 2 shown]
	v_add_f16_e32 v32, v16, v14
	v_sub_f16_e32 v33, v16, v14
	v_sub_f16_e32 v14, v14, v2
	v_add_f16_e32 v15, v15, v17
	v_sub_f16_e32 v16, v2, v16
	v_add_f16_e32 v2, v32, v2
	v_add_f16_e32 v32, v6, v15
	v_mul_f16_e32 v1, 0x3a52, v1
	v_mul_f16_e32 v6, 0x2b26, v3
	;; [unrolled: 1-line block ×4, first 2 shown]
	v_fma_f16 v15, v15, s8, v32
	v_fma_f16 v3, v3, s6, v1
	v_fma_f16 v6, v18, s9, -v6
	v_fma_f16 v1, v18, s14, -v1
	v_fma_f16 v18, v16, s15, v17
	v_fma_f16 v14, v14, s7, -v17
	v_fma_f16 v16, v16, s17, -v33
	v_add_f16_e32 v3, v3, v15
	v_add_f16_e32 v6, v6, v15
	;; [unrolled: 1-line block ×3, first 2 shown]
	v_fma_f16 v15, v2, s16, v18
	v_fma_f16 v14, v2, s16, v14
	;; [unrolled: 1-line block ×3, first 2 shown]
	v_sub_f16_e32 v33, v3, v15
	v_sub_f16_e32 v34, v1, v2
	v_add_f16_e32 v35, v14, v6
	v_sub_f16_e32 v36, v6, v14
	v_add_f16_e32 v37, v2, v1
	v_add_f16_e32 v38, v15, v3
	s_waitcnt lgkmcnt(0)
	s_barrier
	ds_read_u16 v1, v0
	ds_read_u16 v2, v0 offset:238
	ds_read_u16 v6, v0 offset:476
	;; [unrolled: 1-line block ×8, first 2 shown]
	s_waitcnt lgkmcnt(0)
	s_barrier
	ds_write_b16 v31, v32
	ds_write_b16 v31, v33 offset:34
	ds_write_b16 v31, v34 offset:68
	;; [unrolled: 1-line block ×6, first 2 shown]
	s_and_saveexec_b64 s[2:3], s[0:1]
	s_cbranch_execz .LBB0_25
; %bb.24:
	v_add_f16_e32 v22, v22, v30
	v_add_f16_e32 v23, v23, v28
	;; [unrolled: 1-line block ×3, first 2 shown]
	v_sub_f16_e32 v21, v25, v21
	v_add_f16_e32 v25, v23, v22
	v_sub_f16_e32 v26, v23, v22
	v_sub_f16_e32 v22, v22, v24
	v_sub_f16_e32 v23, v24, v23
	v_mul_f16_e32 v22, 0x3a52, v22
	s_movk_i32 s0, 0x2b26
	v_sub_f16_e32 v20, v20, v27
	v_add_f16_e32 v24, v24, v25
	v_mul_f16_e32 v25, 0x2b26, v23
	v_fma_f16 v23, v23, s0, v22
	s_movk_i32 s0, 0x39e0
	v_sub_f16_e32 v19, v19, v29
	v_add_f16_e32 v27, v21, v20
	v_sub_f16_e32 v28, v21, v20
	v_fma_f16 v25, v26, s0, -v25
	s_mov_b32 s0, 0xb9e0
	v_sub_f16_e32 v21, v19, v21
	v_sub_f16_e32 v20, v20, v19
	v_add_f16_e32 v19, v27, v19
	v_mul_f16_e32 v27, 0x3846, v28
	v_fma_f16 v22, v26, s0, -v22
	s_mov_b32 s0, 0xb574
	v_add_f16_e32 v7, v7, v24
	s_mov_b32 s1, 0xbb00
	v_mul_f16_e32 v28, 0xbb00, v20
	s_mov_b32 s6, 0xbcab
	v_fma_f16 v26, v21, s0, v27
	s_movk_i32 s0, 0x3574
	v_fma_f16 v24, v24, s6, v7
	v_fma_f16 v20, v20, s1, -v27
	v_fma_f16 v21, v21, s0, -v28
	s_mov_b32 s0, 0xb70e
	v_add_f16_e32 v23, v23, v24
	v_add_f16_e32 v25, v25, v24
	;; [unrolled: 1-line block ×3, first 2 shown]
	v_fma_f16 v24, v19, s0, v26
	v_fma_f16 v20, v19, s0, v20
	;; [unrolled: 1-line block ×3, first 2 shown]
	v_sub_f16_e32 v21, v23, v24
	v_sub_f16_e32 v26, v22, v19
	v_add_f16_e32 v19, v19, v22
	v_add_f16_e32 v22, v24, v23
	v_mov_b32_e32 v23, 1
	v_mul_u32_u24_e32 v4, 0xee, v4
	v_lshlrev_b32_sdwa v5, v23, v5 dst_sel:DWORD dst_unused:UNUSED_PAD src0_sel:DWORD src1_sel:BYTE_0
	v_add3_u32 v4, 0, v4, v5
	v_add_f16_e32 v27, v20, v25
	v_sub_f16_e32 v20, v25, v20
	ds_write_b16 v4, v7
	ds_write_b16 v4, v21 offset:34
	ds_write_b16 v4, v26 offset:68
	;; [unrolled: 1-line block ×6, first 2 shown]
.LBB0_25:
	s_or_b64 exec, exec, s[2:3]
	s_waitcnt lgkmcnt(0)
	s_barrier
	s_and_saveexec_b64 s[0:1], vcc
	s_cbranch_execz .LBB0_27
; %bb.26:
	v_lshlrev_b32_e32 v4, 3, v12
	v_mov_b32_e32 v5, 0
	v_lshlrev_b64 v[4:5], 2, v[4:5]
	v_mov_b32_e32 v7, s13
	v_add_co_u32_e32 v4, vcc, s12, v4
	v_addc_co_u32_e32 v5, vcc, v7, v5, vcc
	global_load_dwordx4 v[19:22], v[4:5], off offset:408
	global_load_dwordx4 v[23:26], v[4:5], off offset:424
	v_mul_lo_u32 v7, s5, v10
	v_mul_lo_u32 v11, s4, v11
	v_mad_u64_u32 v[4:5], s[0:1], s4, v10, 0
	ds_read_u16 v10, v0 offset:1904
	ds_read_u16 v12, v0 offset:1666
	;; [unrolled: 1-line block ×8, first 2 shown]
	ds_read_u16 v33, v0
	v_add3_u32 v5, v5, v11, v7
	s_movk_i32 s4, 0x3a21
	s_mov_b32 s1, 0xb924
	s_movk_i32 s5, 0x318f
	s_movk_i32 s2, 0x3aee
	s_movk_i32 s3, 0x3579
	s_mov_b32 s6, 0xbb84
	s_movk_i32 s0, 0x3be1
	s_waitcnt vmcnt(1)
	v_mul_f16_sdwa v11, v3, v21 dst_sel:DWORD dst_unused:UNUSED_PAD src0_sel:DWORD src1_sel:WORD_1
	s_waitcnt vmcnt(0)
	v_mul_f16_sdwa v7, v15, v26 dst_sel:DWORD dst_unused:UNUSED_PAD src0_sel:DWORD src1_sel:WORD_1
	v_mul_f16_sdwa v34, v14, v24 dst_sel:DWORD dst_unused:UNUSED_PAD src0_sel:DWORD src1_sel:WORD_1
	;; [unrolled: 1-line block ×4, first 2 shown]
	s_waitcnt lgkmcnt(4)
	v_mul_f16_sdwa v39, v29, v23 dst_sel:DWORD dst_unused:UNUSED_PAD src0_sel:DWORD src1_sel:WORD_1
	v_mul_f16_sdwa v40, v27, v22 dst_sel:DWORD dst_unused:UNUSED_PAD src0_sel:DWORD src1_sel:WORD_1
	;; [unrolled: 1-line block ×3, first 2 shown]
	s_waitcnt lgkmcnt(3)
	v_mul_f16_sdwa v44, v30, v21 dst_sel:DWORD dst_unused:UNUSED_PAD src0_sel:DWORD src1_sel:WORD_1
	v_mul_f16_sdwa v37, v16, v22 dst_sel:DWORD dst_unused:UNUSED_PAD src0_sel:DWORD src1_sel:WORD_1
	;; [unrolled: 1-line block ×4, first 2 shown]
	s_waitcnt lgkmcnt(2)
	v_mul_f16_sdwa v42, v31, v20 dst_sel:DWORD dst_unused:UNUSED_PAD src0_sel:DWORD src1_sel:WORD_1
	v_mul_f16_sdwa v45, v10, v26 dst_sel:DWORD dst_unused:UNUSED_PAD src0_sel:DWORD src1_sel:WORD_1
	s_waitcnt lgkmcnt(1)
	v_mul_f16_sdwa v46, v32, v19 dst_sel:DWORD dst_unused:UNUSED_PAD src0_sel:DWORD src1_sel:WORD_1
	v_fma_f16 v7, v10, v26, -v7
	v_fma_f16 v10, v30, v21, -v11
	v_fma_f16 v11, v28, v24, -v34
	v_fma_f16 v28, v31, v20, -v35
	v_fma_f16 v12, v12, v25, -v36
	v_fma_f16 v17, v17, v23, v39
	v_fma_f16 v16, v16, v22, v40
	;; [unrolled: 1-line block ×4, first 2 shown]
	v_mul_f16_sdwa v0, v2, v19 dst_sel:DWORD dst_unused:UNUSED_PAD src0_sel:DWORD src1_sel:WORD_1
	v_fma_f16 v27, v27, v22, -v37
	v_fma_f16 v29, v29, v23, -v38
	v_fma_f16 v18, v18, v25, v41
	v_fma_f16 v6, v6, v20, v42
	;; [unrolled: 1-line block ×4, first 2 shown]
	v_sub_f16_e32 v21, v28, v12
	v_add_f16_e32 v25, v3, v14
	v_sub_f16_e32 v3, v3, v14
	v_sub_f16_e32 v14, v16, v17
	v_add_f16_e32 v12, v28, v12
	v_add_f16_e32 v24, v6, v18
	;; [unrolled: 1-line block ×3, first 2 shown]
	v_sub_f16_e32 v2, v2, v15
	v_sub_f16_e32 v6, v6, v18
	v_add_f16_e32 v15, v27, v29
	v_mul_f16_e32 v30, 0x3be1, v14
	s_waitcnt lgkmcnt(0)
	v_fma_f16 v31, v12, s4, v33
	v_fma_f16 v0, v32, v19, -v0
	v_sub_f16_e32 v20, v10, v11
	v_fma_f16 v30, v6, s1, -v30
	v_fma_f16 v31, v15, s5, v31
	v_add_f16_e32 v10, v10, v11
	v_sub_f16_e32 v19, v0, v7
	v_fma_f16 v30, v3, s2, v30
	v_fma_f16 v11, v10, -0.5, v31
	v_add_f16_e32 v7, v0, v7
	v_fma_f16 v30, v2, s3, v30
	v_fma_f16 v0, v7, s6, v11
	v_add_f16_e32 v11, v30, v0
	v_add_f16_e32 v0, v7, v12
	;; [unrolled: 1-line block ×3, first 2 shown]
	v_sub_f16_e32 v22, v27, v29
	v_add_f16_e32 v27, v31, v27
	v_add_f16_e32 v27, v27, v29
	;; [unrolled: 1-line block ×9, first 2 shown]
	v_mul_f16_e32 v18, 0x3be1, v22
	v_fma_f16 v17, v29, -0.5, v17
	v_add_f16_e32 v29, v19, v22
	v_fma_f16 v18, v21, s1, -v18
	v_sub_f16_e32 v29, v29, v21
	s_mov_b32 s1, 0xbaee
	v_mul_f16_e32 v31, 0x3aee, v29
	v_fma_f16 v17, v29, s1, v17
	v_fma_f16 v29, v31, 2.0, v17
	v_add_f16_e32 v31, v2, v14
	v_add_f16_e32 v34, v10, v33
	;; [unrolled: 1-line block ×3, first 2 shown]
	v_sub_f16_e32 v31, v31, v6
	v_fma_f16 v0, v0, -0.5, v34
	v_mul_f16_e32 v32, 0x3aee, v31
	v_fma_f16 v31, v31, s2, v0
	v_fma_f16 v0, v23, s4, v1
	v_mul_f16_e32 v34, 0xb924, v22
	v_fma_f16 v0, v26, s5, v0
	v_fma_f16 v34, v19, s0, v34
	v_fma_f16 v0, v25, -0.5, v0
	v_fma_f16 v34, v20, s1, v34
	v_fma_f16 v0, v24, s6, v0
	;; [unrolled: 1-line block ×3, first 2 shown]
	v_sub_f16_e32 v35, v0, v34
	v_mul_f16_e32 v0, 0xb924, v14
	v_fma_f16 v36, v15, s4, v33
	v_fma_f16 v0, v2, s0, v0
	;; [unrolled: 1-line block ×4, first 2 shown]
	v_fma_f16 v36, v10, -0.5, v36
	v_fma_f16 v0, v6, s3, v0
	v_fma_f16 v36, v12, s6, v36
	v_add_f16_e32 v36, v0, v36
	v_fma_f16 v28, v24, s4, v1
	v_add_f16_e32 v16, v1, v16
	v_fma_f16 v37, v0, -2.0, v36
	v_mul_f16_e32 v0, 0x3be1, v21
	s_movk_i32 s0, 0x3924
	v_fma_f16 v1, v26, s4, v1
	v_fma_f16 v0, v19, s0, v0
	;; [unrolled: 1-line block ×4, first 2 shown]
	v_fma_f16 v1, v25, -0.5, v1
	v_fma_f16 v18, v20, s2, v18
	v_fma_f16 v0, v22, s3, v0
	;; [unrolled: 1-line block ×4, first 2 shown]
	v_sub_f16_e32 v19, v1, v0
	v_fma_f16 v20, v0, 2.0, v19
	v_mul_f16_e32 v0, 0x3be1, v6
	v_fma_f16 v0, v2, s0, v0
	v_fma_f16 v0, v3, s2, v0
	;; [unrolled: 1-line block ×3, first 2 shown]
	v_mad_u64_u32 v[0:1], s[0:1], s20, v13, 0
	v_fma_f16 v2, v7, s4, v33
	v_fma_f16 v2, v12, s5, v2
	v_fma_f16 v6, v10, -0.5, v2
	v_mad_u64_u32 v[1:2], s[0:1], s21, v13, v[1:2]
	v_fma_f16 v2, v15, s6, v6
	v_add_f16_e32 v6, v3, v2
	v_fma_f16 v7, v3, -2.0, v6
	v_lshlrev_b64 v[2:3], 2, v[4:5]
	v_mov_b32_e32 v4, s11
	v_add_co_u32_e32 v5, vcc, s10, v2
	v_addc_co_u32_e32 v4, vcc, v4, v3, vcc
	v_lshlrev_b64 v[2:3], 2, v[8:9]
	v_add_u32_e32 v12, 0xee, v13
	v_add_co_u32_e32 v8, vcc, v5, v2
	v_addc_co_u32_e32 v9, vcc, v4, v3, vcc
	v_add_u32_e32 v4, 0x77, v13
	v_mad_u64_u32 v[2:3], s[0:1], s20, v4, 0
	v_lshlrev_b64 v[0:1], 2, v[0:1]
	v_add_f16_e32 v27, v33, v27
	v_mad_u64_u32 v[3:4], s[0:1], s21, v4, v[3:4]
	v_mad_u64_u32 v[4:5], s[0:1], s20, v12, 0
	v_add_co_u32_e32 v0, vcc, v8, v0
	v_addc_co_u32_e32 v1, vcc, v9, v1, vcc
	v_pack_b32_f16 v10, v16, v27
	global_store_dword v[0:1], v10, off
	v_lshlrev_b64 v[0:1], 2, v[2:3]
	v_mov_b32_e32 v2, v5
	v_mad_u64_u32 v[2:3], s[0:1], s21, v12, v[2:3]
	v_add_co_u32_e32 v0, vcc, v8, v0
	v_addc_co_u32_e32 v1, vcc, v9, v1, vcc
	v_pack_b32_f16 v3, v19, v6
	v_mov_b32_e32 v5, v2
	global_store_dword v[0:1], v3, off
	v_lshlrev_b64 v[0:1], 2, v[4:5]
	v_add_u32_e32 v4, 0x165, v13
	v_mad_u64_u32 v[2:3], s[0:1], s20, v4, 0
	v_add_u32_e32 v10, 0x1dc, v13
	v_add_co_u32_e32 v0, vcc, v8, v0
	v_mad_u64_u32 v[3:4], s[0:1], s21, v4, v[3:4]
	v_mad_u64_u32 v[4:5], s[0:1], s20, v10, 0
	v_addc_co_u32_e32 v1, vcc, v9, v1, vcc
	v_pack_b32_f16 v6, v35, v36
	global_store_dword v[0:1], v6, off
	v_lshlrev_b64 v[0:1], 2, v[2:3]
	v_mov_b32_e32 v2, v5
	v_mad_u64_u32 v[2:3], s[0:1], s21, v10, v[2:3]
	v_add_co_u32_e32 v0, vcc, v8, v0
	v_addc_co_u32_e32 v1, vcc, v9, v1, vcc
	v_pack_b32_f16 v3, v17, v31
	v_mov_b32_e32 v5, v2
	global_store_dword v[0:1], v3, off
	v_lshlrev_b64 v[0:1], 2, v[4:5]
	v_add_u32_e32 v4, 0x253, v13
	v_mad_u64_u32 v[2:3], s[0:1], s20, v4, 0
	v_fma_f16 v28, v23, s5, v28
	v_add_u32_e32 v10, 0x2ca, v13
	v_mad_u64_u32 v[3:4], s[0:1], s21, v4, v[3:4]
	v_fma_f16 v28, v25, -0.5, v28
	v_mad_u64_u32 v[4:5], s[0:1], s20, v10, 0
	v_fma_f16 v28, v26, s6, v28
	v_sub_f16_e32 v28, v28, v18
	v_add_co_u32_e32 v0, vcc, v8, v0
	v_addc_co_u32_e32 v1, vcc, v9, v1, vcc
	v_pack_b32_f16 v6, v28, v11
	global_store_dword v[0:1], v6, off
	v_lshlrev_b64 v[0:1], 2, v[2:3]
	v_mov_b32_e32 v2, v5
	v_mad_u64_u32 v[2:3], s[0:1], s21, v10, v[2:3]
	v_fma_f16 v18, v18, 2.0, v28
	v_fma_f16 v30, v30, -2.0, v11
	v_add_co_u32_e32 v0, vcc, v8, v0
	v_addc_co_u32_e32 v1, vcc, v9, v1, vcc
	v_pack_b32_f16 v3, v18, v30
	v_mov_b32_e32 v5, v2
	global_store_dword v[0:1], v3, off
	v_lshlrev_b64 v[0:1], 2, v[4:5]
	v_add_u32_e32 v4, 0x341, v13
	v_mad_u64_u32 v[2:3], s[0:1], s20, v4, 0
	v_add_u32_e32 v10, 0x3b8, v13
	v_fma_f16 v32, v32, -2.0, v31
	v_mad_u64_u32 v[3:4], s[0:1], s21, v4, v[3:4]
	v_mad_u64_u32 v[4:5], s[0:1], s20, v10, 0
	v_add_co_u32_e32 v0, vcc, v8, v0
	v_addc_co_u32_e32 v1, vcc, v9, v1, vcc
	v_pack_b32_f16 v6, v29, v32
	global_store_dword v[0:1], v6, off
	v_lshlrev_b64 v[0:1], 2, v[2:3]
	v_mov_b32_e32 v2, v5
	v_mad_u64_u32 v[2:3], s[0:1], s21, v10, v[2:3]
	v_fma_f16 v34, v34, 2.0, v35
	v_add_co_u32_e32 v0, vcc, v8, v0
	v_addc_co_u32_e32 v1, vcc, v9, v1, vcc
	v_pack_b32_f16 v3, v34, v37
	v_mov_b32_e32 v5, v2
	global_store_dword v[0:1], v3, off
	v_lshlrev_b64 v[0:1], 2, v[4:5]
	v_pack_b32_f16 v2, v20, v7
	v_add_co_u32_e32 v0, vcc, v8, v0
	v_addc_co_u32_e32 v1, vcc, v9, v1, vcc
	global_store_dword v[0:1], v2, off
.LBB0_27:
	s_endpgm
	.section	.rodata,"a",@progbits
	.p2align	6, 0x0
	.amdhsa_kernel fft_rtc_back_len1071_factors_17_7_9_wgs_119_tpt_119_halfLds_half_op_CI_CI_sbrr_dirReg
		.amdhsa_group_segment_fixed_size 0
		.amdhsa_private_segment_fixed_size 0
		.amdhsa_kernarg_size 104
		.amdhsa_user_sgpr_count 6
		.amdhsa_user_sgpr_private_segment_buffer 1
		.amdhsa_user_sgpr_dispatch_ptr 0
		.amdhsa_user_sgpr_queue_ptr 0
		.amdhsa_user_sgpr_kernarg_segment_ptr 1
		.amdhsa_user_sgpr_dispatch_id 0
		.amdhsa_user_sgpr_flat_scratch_init 0
		.amdhsa_user_sgpr_private_segment_size 0
		.amdhsa_uses_dynamic_stack 0
		.amdhsa_system_sgpr_private_segment_wavefront_offset 0
		.amdhsa_system_sgpr_workgroup_id_x 1
		.amdhsa_system_sgpr_workgroup_id_y 0
		.amdhsa_system_sgpr_workgroup_id_z 0
		.amdhsa_system_sgpr_workgroup_info 0
		.amdhsa_system_vgpr_workitem_id 0
		.amdhsa_next_free_vgpr 120
		.amdhsa_next_free_sgpr 32
		.amdhsa_reserve_vcc 1
		.amdhsa_reserve_flat_scratch 0
		.amdhsa_float_round_mode_32 0
		.amdhsa_float_round_mode_16_64 0
		.amdhsa_float_denorm_mode_32 3
		.amdhsa_float_denorm_mode_16_64 3
		.amdhsa_dx10_clamp 1
		.amdhsa_ieee_mode 1
		.amdhsa_fp16_overflow 0
		.amdhsa_exception_fp_ieee_invalid_op 0
		.amdhsa_exception_fp_denorm_src 0
		.amdhsa_exception_fp_ieee_div_zero 0
		.amdhsa_exception_fp_ieee_overflow 0
		.amdhsa_exception_fp_ieee_underflow 0
		.amdhsa_exception_fp_ieee_inexact 0
		.amdhsa_exception_int_div_zero 0
	.end_amdhsa_kernel
	.text
.Lfunc_end0:
	.size	fft_rtc_back_len1071_factors_17_7_9_wgs_119_tpt_119_halfLds_half_op_CI_CI_sbrr_dirReg, .Lfunc_end0-fft_rtc_back_len1071_factors_17_7_9_wgs_119_tpt_119_halfLds_half_op_CI_CI_sbrr_dirReg
                                        ; -- End function
	.section	.AMDGPU.csdata,"",@progbits
; Kernel info:
; codeLenInByte = 12484
; NumSgprs: 36
; NumVgprs: 120
; ScratchSize: 0
; MemoryBound: 0
; FloatMode: 240
; IeeeMode: 1
; LDSByteSize: 0 bytes/workgroup (compile time only)
; SGPRBlocks: 4
; VGPRBlocks: 29
; NumSGPRsForWavesPerEU: 36
; NumVGPRsForWavesPerEU: 120
; Occupancy: 2
; WaveLimiterHint : 1
; COMPUTE_PGM_RSRC2:SCRATCH_EN: 0
; COMPUTE_PGM_RSRC2:USER_SGPR: 6
; COMPUTE_PGM_RSRC2:TRAP_HANDLER: 0
; COMPUTE_PGM_RSRC2:TGID_X_EN: 1
; COMPUTE_PGM_RSRC2:TGID_Y_EN: 0
; COMPUTE_PGM_RSRC2:TGID_Z_EN: 0
; COMPUTE_PGM_RSRC2:TIDIG_COMP_CNT: 0
	.type	__hip_cuid_e26ea406233feb41,@object ; @__hip_cuid_e26ea406233feb41
	.section	.bss,"aw",@nobits
	.globl	__hip_cuid_e26ea406233feb41
__hip_cuid_e26ea406233feb41:
	.byte	0                               ; 0x0
	.size	__hip_cuid_e26ea406233feb41, 1

	.ident	"AMD clang version 19.0.0git (https://github.com/RadeonOpenCompute/llvm-project roc-6.4.0 25133 c7fe45cf4b819c5991fe208aaa96edf142730f1d)"
	.section	".note.GNU-stack","",@progbits
	.addrsig
	.addrsig_sym __hip_cuid_e26ea406233feb41
	.amdgpu_metadata
---
amdhsa.kernels:
  - .args:
      - .actual_access:  read_only
        .address_space:  global
        .offset:         0
        .size:           8
        .value_kind:     global_buffer
      - .offset:         8
        .size:           8
        .value_kind:     by_value
      - .actual_access:  read_only
        .address_space:  global
        .offset:         16
        .size:           8
        .value_kind:     global_buffer
      - .actual_access:  read_only
        .address_space:  global
        .offset:         24
        .size:           8
        .value_kind:     global_buffer
      - .actual_access:  read_only
        .address_space:  global
        .offset:         32
        .size:           8
        .value_kind:     global_buffer
      - .offset:         40
        .size:           8
        .value_kind:     by_value
      - .actual_access:  read_only
        .address_space:  global
        .offset:         48
        .size:           8
        .value_kind:     global_buffer
      - .actual_access:  read_only
        .address_space:  global
        .offset:         56
        .size:           8
        .value_kind:     global_buffer
      - .offset:         64
        .size:           4
        .value_kind:     by_value
      - .actual_access:  read_only
        .address_space:  global
        .offset:         72
        .size:           8
        .value_kind:     global_buffer
      - .actual_access:  read_only
        .address_space:  global
        .offset:         80
        .size:           8
        .value_kind:     global_buffer
      - .actual_access:  read_only
        .address_space:  global
        .offset:         88
        .size:           8
        .value_kind:     global_buffer
      - .actual_access:  write_only
        .address_space:  global
        .offset:         96
        .size:           8
        .value_kind:     global_buffer
    .group_segment_fixed_size: 0
    .kernarg_segment_align: 8
    .kernarg_segment_size: 104
    .language:       OpenCL C
    .language_version:
      - 2
      - 0
    .max_flat_workgroup_size: 119
    .name:           fft_rtc_back_len1071_factors_17_7_9_wgs_119_tpt_119_halfLds_half_op_CI_CI_sbrr_dirReg
    .private_segment_fixed_size: 0
    .sgpr_count:     36
    .sgpr_spill_count: 0
    .symbol:         fft_rtc_back_len1071_factors_17_7_9_wgs_119_tpt_119_halfLds_half_op_CI_CI_sbrr_dirReg.kd
    .uniform_work_group_size: 1
    .uses_dynamic_stack: false
    .vgpr_count:     120
    .vgpr_spill_count: 0
    .wavefront_size: 64
amdhsa.target:   amdgcn-amd-amdhsa--gfx906
amdhsa.version:
  - 1
  - 2
...

	.end_amdgpu_metadata
